;; amdgpu-corpus repo=ROCm/rocFFT kind=compiled arch=gfx950 opt=O3
	.text
	.amdgcn_target "amdgcn-amd-amdhsa--gfx950"
	.amdhsa_code_object_version 6
	.protected	bluestein_single_back_len1782_dim1_dp_op_CI_CI ; -- Begin function bluestein_single_back_len1782_dim1_dp_op_CI_CI
	.globl	bluestein_single_back_len1782_dim1_dp_op_CI_CI
	.p2align	8
	.type	bluestein_single_back_len1782_dim1_dp_op_CI_CI,@function
bluestein_single_back_len1782_dim1_dp_op_CI_CI: ; @bluestein_single_back_len1782_dim1_dp_op_CI_CI
; %bb.0:
	s_load_dwordx4 s[4:7], s[0:1], 0x28
	v_mul_u32_u24_e32 v1, 0x296, v0
	v_mov_b32_e32 v235, 0
	v_add_u32_sdwa v6, s2, v1 dst_sel:DWORD dst_unused:UNUSED_PAD src0_sel:DWORD src1_sel:WORD_1
	v_mov_b32_e32 v7, v235
	s_waitcnt lgkmcnt(0)
	v_cmp_gt_u64_e32 vcc, s[4:5], v[6:7]
	s_and_saveexec_b64 s[2:3], vcc
	s_cbranch_execz .LBB0_15
; %bb.1:
	s_load_dwordx4 s[12:15], s[0:1], 0x18
	s_load_dwordx2 s[16:17], s[0:1], 0x0
	s_movk_i32 s2, 0x63
	v_mul_lo_u16_sdwa v1, v1, s2 dst_sel:DWORD dst_unused:UNUSED_PAD src0_sel:WORD_1 src1_sel:DWORD
	v_sub_u16_e32 v234, v0, v1
	s_waitcnt lgkmcnt(0)
	s_load_dwordx4 s[8:11], s[12:13], 0x0
	v_accvgpr_write_b32 a2, v6
	v_mov_b32_e32 v2, s6
	v_mov_b32_e32 v3, s7
	v_lshlrev_b32_e32 v92, 4, v234
	s_waitcnt lgkmcnt(0)
	v_mad_u64_u32 v[0:1], s[2:3], s10, v6, 0
	v_mov_b32_e32 v4, v1
	v_mad_u64_u32 v[4:5], s[2:3], s11, v6, v[4:5]
	v_mov_b32_e32 v1, v4
	v_mad_u64_u32 v[4:5], s[2:3], s8, v234, 0
	v_mov_b32_e32 v6, v5
	v_mad_u64_u32 v[6:7], s[2:3], s9, v234, v[6:7]
	s_mul_i32 s2, s9, 0xa2
	s_mul_hi_u32 s3, s8, 0xa2
	v_mov_b32_e32 v5, v6
	v_lshl_add_u64 v[0:1], v[0:1], 4, v[2:3]
	s_add_i32 s3, s3, s2
	s_mul_i32 s2, s8, 0xa2
	v_lshl_add_u64 v[8:9], v[4:5], 4, v[0:1]
	v_mov_b32_e32 v93, v235
	global_load_dwordx4 v[62:65], v92, s[16:17]
	s_lshl_b64 s[10:11], s[2:3], 4
	v_lshl_add_u64 v[94:95], s[16:17], 0, v[92:93]
	v_lshl_add_u64 v[10:11], v[8:9], 0, s[10:11]
	global_load_dwordx4 v[4:7], v[8:9], off
	global_load_dwordx4 v[0:3], v[10:11], off
	global_load_dwordx4 v[70:73], v92, s[16:17] offset:2592
	s_movk_i32 s2, 0x1000
	v_lshl_add_u64 v[14:15], v[10:11], 0, s[10:11]
	v_add_co_u32_e32 v12, vcc, s2, v94
	global_load_dwordx4 v[8:11], v[14:15], off
	s_nop 0
	v_addc_co_u32_e32 v13, vcc, 0, v95, vcc
	v_lshl_add_u64 v[14:15], v[14:15], 0, s[10:11]
	global_load_dwordx4 v[82:85], v[12:13], off offset:1088
	global_load_dwordx4 v[78:81], v[12:13], off offset:3680
	s_movk_i32 s2, 0x2000
	v_lshl_add_u64 v[16:17], v[14:15], 0, s[10:11]
	global_load_dwordx4 v[26:29], v[14:15], off
	global_load_dwordx4 v[30:33], v[16:17], off
	v_add_co_u32_e32 v14, vcc, s2, v94
	v_lshl_add_u64 v[18:19], v[16:17], 0, s[10:11]
	s_nop 0
	v_addc_co_u32_e32 v15, vcc, 0, v95, vcc
	global_load_dwordx4 v[66:69], v[14:15], off offset:2176
	s_movk_i32 s2, 0x3000
	global_load_dwordx4 v[34:37], v[18:19], off
	v_add_co_u32_e32 v16, vcc, s2, v94
	v_lshl_add_u64 v[18:19], v[18:19], 0, s[10:11]
	s_nop 0
	v_addc_co_u32_e32 v17, vcc, 0, v95, vcc
	global_load_dwordx4 v[38:41], v[18:19], off
	global_load_dwordx4 v[104:107], v[16:17], off offset:672
	global_load_dwordx4 v[74:77], v[16:17], off offset:3264
	s_movk_i32 s2, 0x4000
	v_lshl_add_u64 v[20:21], v[18:19], 0, s[10:11]
	v_add_co_u32_e32 v18, vcc, s2, v94
	global_load_dwordx4 v[42:45], v[20:21], off
	s_nop 0
	v_addc_co_u32_e32 v19, vcc, 0, v95, vcc
	global_load_dwordx4 v[96:99], v[18:19], off offset:1760
	v_lshl_add_u64 v[22:23], v[20:21], 0, s[10:11]
	s_movk_i32 s2, 0x5000
	global_load_dwordx4 v[46:49], v[22:23], off
	v_add_co_u32_e32 v20, vcc, s2, v94
	v_lshl_add_u64 v[22:23], v[22:23], 0, s[10:11]
	s_nop 0
	v_addc_co_u32_e32 v21, vcc, 0, v95, vcc
	s_movk_i32 s2, 0x6000
	global_load_dwordx4 v[108:111], v[20:21], off offset:256
	global_load_dwordx4 v[50:53], v[22:23], off
	global_load_dwordx4 v[86:89], v[20:21], off offset:2848
	v_lshl_add_u64 v[24:25], v[22:23], 0, s[10:11]
	v_add_co_u32_e32 v22, vcc, s2, v94
	s_waitcnt vmcnt(19)
	v_accvgpr_write_b32 a4, v62
	v_addc_co_u32_e32 v23, vcc, 0, v95, vcc
	global_load_dwordx4 v[100:103], v[22:23], off offset:1344
	global_load_dwordx4 v[54:57], v[24:25], off
	s_waitcnt vmcnt(20)
	v_mul_f64 v[58:59], v[6:7], v[64:65]
	v_mul_f64 v[60:61], v[4:5], v[64:65]
	v_fmac_f64_e32 v[58:59], v[4:5], v[62:63]
	s_waitcnt vmcnt(18)
	v_mul_f64 v[4:5], v[2:3], v[72:73]
	v_fmac_f64_e32 v[4:5], v[0:1], v[70:71]
	v_mul_f64 v[0:1], v[0:1], v[72:73]
	v_fma_f64 v[60:61], v[6:7], v[62:63], -v[60:61]
	v_fma_f64 v[6:7], v[2:3], v[70:71], -v[0:1]
	s_waitcnt vmcnt(16)
	v_mul_f64 v[0:1], v[10:11], v[84:85]
	v_mul_f64 v[2:3], v[8:9], v[84:85]
	v_fmac_f64_e32 v[0:1], v[8:9], v[82:83]
	v_fma_f64 v[2:3], v[10:11], v[82:83], -v[2:3]
	s_load_dwordx2 s[2:3], s[0:1], 0x38
	s_load_dwordx4 s[4:7], s[14:15], 0x0
	ds_write_b128 v92, v[0:3] offset:5184
	s_waitcnt vmcnt(14)
	v_mul_f64 v[0:1], v[28:29], v[80:81]
	v_mul_f64 v[2:3], v[26:27], v[80:81]
	v_fmac_f64_e32 v[0:1], v[26:27], v[78:79]
	v_fma_f64 v[2:3], v[28:29], v[78:79], -v[2:3]
	ds_write_b128 v92, v[0:3] offset:7776
	s_waitcnt vmcnt(12)
	v_mul_f64 v[0:1], v[32:33], v[68:69]
	v_mul_f64 v[2:3], v[30:31], v[68:69]
	v_fmac_f64_e32 v[0:1], v[30:31], v[66:67]
	v_fma_f64 v[2:3], v[32:33], v[66:67], -v[2:3]
	ds_write_b128 v92, v[0:3] offset:10368
	v_accvgpr_write_b32 a12, v70
	s_waitcnt vmcnt(9)
	v_mul_f64 v[0:1], v[36:37], v[106:107]
	v_mul_f64 v[2:3], v[34:35], v[106:107]
	v_fmac_f64_e32 v[0:1], v[34:35], v[104:105]
	v_fma_f64 v[2:3], v[36:37], v[104:105], -v[2:3]
	ds_write_b128 v92, v[0:3] offset:12960
	s_waitcnt vmcnt(8)
	v_mul_f64 v[0:1], v[40:41], v[76:77]
	v_mul_f64 v[2:3], v[38:39], v[76:77]
	v_fmac_f64_e32 v[0:1], v[38:39], v[74:75]
	v_fma_f64 v[2:3], v[40:41], v[74:75], -v[2:3]
	ds_write_b128 v92, v[0:3] offset:15552
	;; [unrolled: 6-line block ×3, first 2 shown]
	v_accvgpr_write_b32 a24, v82
	v_accvgpr_write_b32 a20, v78
	s_waitcnt vmcnt(4)
	v_mul_f64 v[0:1], v[48:49], v[110:111]
	v_mul_f64 v[2:3], v[46:47], v[110:111]
	v_fmac_f64_e32 v[0:1], v[46:47], v[108:109]
	v_fma_f64 v[2:3], v[48:49], v[108:109], -v[2:3]
	ds_write_b128 v92, v[0:3] offset:20736
	s_waitcnt vmcnt(2)
	v_mul_f64 v[0:1], v[52:53], v[88:89]
	v_mul_f64 v[2:3], v[50:51], v[88:89]
	v_fmac_f64_e32 v[0:1], v[50:51], v[86:87]
	v_fma_f64 v[2:3], v[52:53], v[86:87], -v[2:3]
	v_accvgpr_write_b32 a8, v66
	v_accvgpr_write_b32 a40, v104
	;; [unrolled: 1-line block ×6, first 2 shown]
	ds_write_b128 v92, v[0:3] offset:23328
	v_accvgpr_write_b32 a5, v63
	v_accvgpr_write_b32 a6, v64
	;; [unrolled: 1-line block ×20, first 2 shown]
	s_waitcnt vmcnt(1)
	v_accvgpr_write_b32 a36, v100
	s_waitcnt vmcnt(0)
	v_mul_f64 v[0:1], v[56:57], v[102:103]
	v_mul_f64 v[2:3], v[54:55], v[102:103]
	v_accvgpr_write_b32 a19, v77
	v_accvgpr_write_b32 a33, v97
	;; [unrolled: 1-line block ×10, first 2 shown]
	v_fmac_f64_e32 v[0:1], v[54:55], v[100:101]
	v_accvgpr_write_b32 a37, v101
	v_accvgpr_write_b32 a38, v102
	;; [unrolled: 1-line block ×3, first 2 shown]
	v_fma_f64 v[2:3], v[56:57], v[100:101], -v[2:3]
	v_cmp_gt_u16_e32 vcc, 63, v234
	ds_write_b128 v92, v[58:61]
	ds_write_b128 v92, v[4:7] offset:2592
	ds_write_b128 v92, v[0:3] offset:25920
	s_and_saveexec_b64 s[12:13], vcc
	s_cbranch_execz .LBB0_3
; %bb.2:
	v_mov_b32_e32 v0, 0xffffa0f0
	s_mulk_i32 s9, 0xa0f0
	v_mad_u64_u32 v[8:9], s[14:15], s8, v0, v[24:25]
	s_sub_i32 s8, s9, s8
	v_add_u32_e32 v9, s8, v9
	v_lshl_add_u64 v[28:29], v[8:9], 0, s[10:11]
	global_load_dwordx4 v[0:3], v[8:9], off
	global_load_dwordx4 v[4:7], v[94:95], off offset:1584
	v_lshl_add_u64 v[40:41], v[28:29], 0, s[10:11]
	global_load_dwordx4 v[8:11], v[28:29], off
	global_load_dwordx4 v[24:27], v[12:13], off offset:80
	s_nop 0
	global_load_dwordx4 v[28:31], v[40:41], off
	global_load_dwordx4 v[32:35], v[12:13], off offset:2672
	global_load_dwordx4 v[36:39], v[14:15], off offset:1168
	v_lshl_add_u64 v[12:13], v[40:41], 0, s[10:11]
	global_load_dwordx4 v[40:43], v[12:13], off
	v_lshl_add_u64 v[12:13], v[12:13], 0, s[10:11]
	global_load_dwordx4 v[44:47], v[12:13], off
	global_load_dwordx4 v[48:51], v[14:15], off offset:3760
	global_load_dwordx4 v[52:55], v[16:17], off offset:2256
	v_lshl_add_u64 v[16:17], v[12:13], 0, s[10:11]
	global_load_dwordx4 v[12:15], v[16:17], off
	v_lshl_add_u64 v[16:17], v[16:17], 0, s[10:11]
	v_lshl_add_u64 v[68:69], v[16:17], 0, s[10:11]
	global_load_dwordx4 v[56:59], v[16:17], off
	global_load_dwordx4 v[60:63], v[18:19], off offset:752
	global_load_dwordx4 v[64:67], v[18:19], off offset:3344
	v_lshl_add_u64 v[80:81], v[68:69], 0, s[10:11]
	global_load_dwordx4 v[16:19], v[68:69], off
	v_lshl_add_u64 v[84:85], v[80:81], 0, s[10:11]
	global_load_dwordx4 v[68:71], v[80:81], off
	global_load_dwordx4 v[72:75], v[20:21], off offset:1840
                                        ; kill: killed $vgpr20 killed $vgpr21
	global_load_dwordx4 v[76:79], v[22:23], off offset:336
	s_nop 0
	global_load_dwordx4 v[80:83], v[84:85], off
	s_nop 0
	global_load_dwordx4 v[20:23], v[22:23], off offset:2928
	v_lshl_add_u64 v[84:85], v[84:85], 0, s[10:11]
	global_load_dwordx4 v[84:87], v[84:85], off
	s_waitcnt vmcnt(20)
	v_mul_f64 v[88:89], v[2:3], v[6:7]
	v_mul_f64 v[6:7], v[0:1], v[6:7]
	v_fmac_f64_e32 v[88:89], v[0:1], v[4:5]
	v_fma_f64 v[90:91], v[2:3], v[4:5], -v[6:7]
	s_waitcnt vmcnt(18)
	v_mul_f64 v[0:1], v[10:11], v[26:27]
	v_mul_f64 v[2:3], v[8:9], v[26:27]
	s_waitcnt vmcnt(16)
	v_mul_f64 v[4:5], v[30:31], v[34:35]
	v_mul_f64 v[6:7], v[28:29], v[34:35]
	v_fmac_f64_e32 v[0:1], v[8:9], v[24:25]
	v_fma_f64 v[2:3], v[10:11], v[24:25], -v[2:3]
	v_fmac_f64_e32 v[4:5], v[28:29], v[32:33]
	v_fma_f64 v[6:7], v[30:31], v[32:33], -v[6:7]
	ds_write_b128 v92, v[0:3] offset:4176
	s_waitcnt vmcnt(14)
	v_mul_f64 v[0:1], v[42:43], v[38:39]
	v_mul_f64 v[2:3], v[40:41], v[38:39]
	ds_write_b128 v92, v[4:7] offset:6768
	s_waitcnt vmcnt(12)
	v_mul_f64 v[4:5], v[46:47], v[50:51]
	v_mul_f64 v[6:7], v[44:45], v[50:51]
	v_fmac_f64_e32 v[0:1], v[40:41], v[36:37]
	v_fma_f64 v[2:3], v[42:43], v[36:37], -v[2:3]
	v_fmac_f64_e32 v[4:5], v[44:45], v[48:49]
	v_fma_f64 v[6:7], v[46:47], v[48:49], -v[6:7]
	ds_write_b128 v92, v[0:3] offset:9360
	s_waitcnt vmcnt(10)
	v_mul_f64 v[0:1], v[14:15], v[54:55]
	v_mul_f64 v[2:3], v[12:13], v[54:55]
	ds_write_b128 v92, v[4:7] offset:11952
	s_waitcnt vmcnt(8)
	v_mul_f64 v[4:5], v[58:59], v[62:63]
	v_mul_f64 v[6:7], v[56:57], v[62:63]
	v_fmac_f64_e32 v[0:1], v[12:13], v[52:53]
	v_fma_f64 v[2:3], v[14:15], v[52:53], -v[2:3]
	v_fmac_f64_e32 v[4:5], v[56:57], v[60:61]
	v_fma_f64 v[6:7], v[58:59], v[60:61], -v[6:7]
	ds_write_b128 v92, v[0:3] offset:14544
	s_waitcnt vmcnt(6)
	v_mul_f64 v[0:1], v[18:19], v[66:67]
	v_mul_f64 v[2:3], v[16:17], v[66:67]
	ds_write_b128 v92, v[4:7] offset:17136
	s_waitcnt vmcnt(4)
	v_mul_f64 v[4:5], v[70:71], v[74:75]
	v_mul_f64 v[6:7], v[68:69], v[74:75]
	v_fmac_f64_e32 v[0:1], v[16:17], v[64:65]
	v_fma_f64 v[2:3], v[18:19], v[64:65], -v[2:3]
	v_fmac_f64_e32 v[4:5], v[68:69], v[72:73]
	v_fma_f64 v[6:7], v[70:71], v[72:73], -v[6:7]
	ds_write_b128 v92, v[0:3] offset:19728
	s_waitcnt vmcnt(2)
	v_mul_f64 v[0:1], v[82:83], v[78:79]
	v_mul_f64 v[2:3], v[80:81], v[78:79]
	ds_write_b128 v92, v[4:7] offset:22320
	s_waitcnt vmcnt(0)
	v_mul_f64 v[4:5], v[86:87], v[22:23]
	v_mul_f64 v[6:7], v[84:85], v[22:23]
	v_fmac_f64_e32 v[0:1], v[80:81], v[76:77]
	v_fma_f64 v[2:3], v[82:83], v[76:77], -v[2:3]
	v_fmac_f64_e32 v[4:5], v[84:85], v[20:21]
	v_fma_f64 v[6:7], v[86:87], v[20:21], -v[6:7]
	ds_write_b128 v92, v[88:91] offset:1584
	ds_write_b128 v92, v[0:3] offset:24912
	;; [unrolled: 1-line block ×3, first 2 shown]
.LBB0_3:
	s_or_b64 exec, exec, s[12:13]
	s_waitcnt lgkmcnt(0)
	s_barrier
	ds_read_b128 v[56:59], v92
	ds_read_b128 v[84:87], v92 offset:2592
	ds_read_b128 v[52:55], v92 offset:5184
	;; [unrolled: 1-line block ×10, first 2 shown]
	s_load_dwordx2 s[8:9], s[0:1], 0x8
                                        ; implicit-def: $vgpr0_vgpr1
                                        ; implicit-def: $vgpr4_vgpr5
                                        ; implicit-def: $vgpr8_vgpr9
                                        ; implicit-def: $vgpr12_vgpr13
                                        ; implicit-def: $vgpr16_vgpr17
                                        ; implicit-def: $vgpr20_vgpr21
                                        ; implicit-def: $vgpr24_vgpr25
                                        ; implicit-def: $vgpr60_vgpr61
                                        ; implicit-def: $vgpr64_vgpr65
                                        ; implicit-def: $vgpr68_vgpr69
                                        ; implicit-def: $vgpr72_vgpr73
	s_and_saveexec_b64 s[0:1], vcc
	s_cbranch_execz .LBB0_5
; %bb.4:
	ds_read_b128 v[0:3], v92 offset:1584
	ds_read_b128 v[4:7], v92 offset:4176
	;; [unrolled: 1-line block ×11, first 2 shown]
.LBB0_5:
	s_or_b64 exec, exec, s[0:1]
	s_waitcnt lgkmcnt(0)
	v_add_f64 v[76:77], v[56:57], v[84:85]
	v_add_f64 v[78:79], v[58:59], v[86:87]
	;; [unrolled: 1-line block ×15, first 2 shown]
	s_mov_b32 s18, 0xf8bb580b
	s_mov_b32 s26, 0x8eee2c13
	;; [unrolled: 1-line block ×5, first 2 shown]
	v_add_f64 v[78:79], v[78:79], v[50:51]
	v_add_f64 v[76:77], v[76:77], v[80:81]
	;; [unrolled: 1-line block ×3, first 2 shown]
	v_add_f64 v[86:87], v[86:87], -v[90:91]
	s_mov_b32 s19, 0xbfe14ced
	s_mov_b32 s0, 0x8764f0ba
	;; [unrolled: 1-line block ×10, first 2 shown]
	v_add_f64 v[78:79], v[78:79], v[82:83]
	v_add_f64 v[76:77], v[76:77], v[88:89]
	;; [unrolled: 1-line block ×3, first 2 shown]
	v_add_f64 v[84:85], v[84:85], -v[88:89]
	v_mul_f64 v[88:89], v[86:87], s[18:19]
	s_mov_b32 s1, 0x3feaeb8c
	v_mul_f64 v[104:105], v[86:87], s[26:27]
	s_mov_b32 s11, 0x3fda9628
	;; [unrolled: 2-line block ×5, first 2 shown]
	v_add_f64 v[78:79], v[78:79], v[90:91]
	v_fma_f64 v[90:91], v[96:97], s[0:1], -v[88:89]
	v_mul_f64 v[100:101], v[84:85], s[18:19]
	v_fmac_f64_e32 v[88:89], s[0:1], v[96:97]
	v_fma_f64 v[106:107], v[96:97], s[10:11], -v[104:105]
	v_mul_f64 v[108:109], v[84:85], s[26:27]
	v_fmac_f64_e32 v[104:105], s[10:11], v[96:97]
	;; [unrolled: 3-line block ×5, first 2 shown]
	v_add_f64 v[90:91], v[56:57], v[90:91]
	v_fma_f64 v[102:103], s[0:1], v[98:99], v[100:101]
	v_add_f64 v[88:89], v[56:57], v[88:89]
	v_fma_f64 v[100:101], v[98:99], s[0:1], -v[100:101]
	v_add_f64 v[106:107], v[56:57], v[106:107]
	v_fma_f64 v[110:111], s[10:11], v[98:99], v[108:109]
	v_add_f64 v[104:105], v[56:57], v[104:105]
	v_fma_f64 v[108:109], v[98:99], s[10:11], -v[108:109]
	;; [unrolled: 4-line block ×5, first 2 shown]
	v_add_f64 v[86:87], v[54:55], v[82:83]
	v_add_f64 v[54:55], v[54:55], -v[82:83]
	v_add_f64 v[102:103], v[58:59], v[102:103]
	v_add_f64 v[100:101], v[58:59], v[100:101]
	;; [unrolled: 1-line block ×11, first 2 shown]
	v_add_f64 v[52:53], v[52:53], -v[80:81]
	v_mul_f64 v[80:81], v[54:55], s[26:27]
	v_fma_f64 v[82:83], v[84:85], s[10:11], -v[80:81]
	v_add_f64 v[82:83], v[82:83], v[90:91]
	v_mul_f64 v[90:91], v[52:53], s[26:27]
	v_fmac_f64_e32 v[80:81], s[10:11], v[84:85]
	v_fma_f64 v[96:97], s[10:11], v[86:87], v[90:91]
	v_add_f64 v[80:81], v[80:81], v[88:89]
	v_fma_f64 v[88:89], v[86:87], s[10:11], -v[90:91]
	v_mul_f64 v[90:91], v[54:55], s[24:25]
	v_add_f64 v[88:89], v[88:89], v[100:101]
	v_fma_f64 v[98:99], v[84:85], s[14:15], -v[90:91]
	v_mul_f64 v[100:101], v[52:53], s[24:25]
	v_fmac_f64_e32 v[90:91], s[14:15], v[84:85]
	s_mov_b32 s35, 0x3fd207e7
	s_mov_b32 s34, s28
	v_add_f64 v[96:97], v[96:97], v[102:103]
	v_fma_f64 v[102:103], s[14:15], v[86:87], v[100:101]
	v_add_f64 v[90:91], v[90:91], v[104:105]
	v_fma_f64 v[100:101], v[86:87], s[14:15], -v[100:101]
	v_mul_f64 v[104:105], v[54:55], s[34:35]
	v_add_f64 v[98:99], v[98:99], v[106:107]
	v_add_f64 v[100:101], v[100:101], v[108:109]
	v_fma_f64 v[106:107], v[84:85], s[22:23], -v[104:105]
	v_mul_f64 v[108:109], v[52:53], s[34:35]
	v_fmac_f64_e32 v[104:105], s[22:23], v[84:85]
	s_mov_b32 s37, 0x3fefac9e
	s_mov_b32 s36, s20
	v_add_f64 v[102:103], v[102:103], v[110:111]
	v_fma_f64 v[110:111], s[22:23], v[86:87], v[108:109]
	v_add_f64 v[104:105], v[104:105], v[112:113]
	v_fma_f64 v[108:109], v[86:87], s[22:23], -v[108:109]
	v_mul_f64 v[112:113], v[54:55], s[36:37]
	s_mov_b32 s31, 0x3fe14ced
	s_mov_b32 s30, s18
	v_add_f64 v[106:107], v[106:107], v[114:115]
	v_add_f64 v[108:109], v[108:109], v[116:117]
	v_fma_f64 v[114:115], v[84:85], s[12:13], -v[112:113]
	v_mul_f64 v[116:117], v[52:53], s[36:37]
	v_mul_f64 v[52:53], v[52:53], s[30:31]
	v_add_f64 v[114:115], v[114:115], v[122:123]
	v_fmac_f64_e32 v[112:113], s[12:13], v[84:85]
	v_mul_f64 v[54:55], v[54:55], s[30:31]
	v_fma_f64 v[122:123], s[0:1], v[86:87], v[52:53]
	v_fma_f64 v[52:53], v[86:87], s[0:1], -v[52:53]
	v_add_f64 v[112:113], v[112:113], v[120:121]
	v_fma_f64 v[120:121], v[84:85], s[0:1], -v[54:55]
	v_fmac_f64_e32 v[54:55], s[0:1], v[84:85]
	v_add_f64 v[52:53], v[52:53], v[58:59]
	v_add_f64 v[58:59], v[46:47], v[50:51]
	v_add_f64 v[46:47], v[46:47], -v[50:51]
	v_add_f64 v[54:55], v[54:55], v[56:57]
	v_add_f64 v[56:57], v[44:45], v[48:49]
	v_add_f64 v[44:45], v[44:45], -v[48:49]
	v_mul_f64 v[48:49], v[46:47], s[20:21]
	v_fma_f64 v[50:51], v[56:57], s[12:13], -v[48:49]
	v_add_f64 v[50:51], v[50:51], v[82:83]
	v_mul_f64 v[82:83], v[44:45], s[20:21]
	v_fmac_f64_e32 v[48:49], s[12:13], v[56:57]
	v_fma_f64 v[84:85], s[12:13], v[58:59], v[82:83]
	v_add_f64 v[48:49], v[48:49], v[80:81]
	v_fma_f64 v[80:81], v[58:59], s[12:13], -v[82:83]
	v_mul_f64 v[82:83], v[46:47], s[34:35]
	v_add_f64 v[110:111], v[110:111], v[118:119]
	v_fma_f64 v[118:119], s[12:13], v[86:87], v[116:117]
	v_fma_f64 v[116:117], v[86:87], s[12:13], -v[116:117]
	v_fma_f64 v[86:87], v[56:57], s[22:23], -v[82:83]
	v_fmac_f64_e32 v[82:83], s[22:23], v[56:57]
	s_mov_b32 s39, 0x3fed1bb4
	s_mov_b32 s38, s26
	v_add_f64 v[80:81], v[80:81], v[88:89]
	v_mul_f64 v[88:89], v[44:45], s[34:35]
	v_add_f64 v[82:83], v[82:83], v[90:91]
	v_mul_f64 v[90:91], v[46:47], s[38:39]
	v_add_f64 v[84:85], v[84:85], v[96:97]
	v_add_f64 v[86:87], v[86:87], v[98:99]
	v_fma_f64 v[96:97], s[22:23], v[58:59], v[88:89]
	v_fma_f64 v[88:89], v[58:59], s[22:23], -v[88:89]
	v_fma_f64 v[98:99], v[56:57], s[10:11], -v[90:91]
	v_fmac_f64_e32 v[90:91], s[10:11], v[56:57]
	v_add_f64 v[88:89], v[88:89], v[100:101]
	v_mul_f64 v[100:101], v[44:45], s[38:39]
	v_add_f64 v[90:91], v[90:91], v[104:105]
	v_mul_f64 v[104:105], v[46:47], s[18:19]
	v_add_f64 v[96:97], v[96:97], v[102:103]
	v_add_f64 v[98:99], v[98:99], v[106:107]
	v_fma_f64 v[102:103], s[10:11], v[58:59], v[100:101]
	v_fma_f64 v[100:101], v[58:59], s[10:11], -v[100:101]
	v_fma_f64 v[106:107], v[56:57], s[0:1], -v[104:105]
	v_fmac_f64_e32 v[104:105], s[0:1], v[56:57]
	v_mul_f64 v[46:47], v[46:47], s[24:25]
	v_add_f64 v[100:101], v[100:101], v[108:109]
	v_mul_f64 v[108:109], v[44:45], s[18:19]
	v_add_f64 v[104:105], v[104:105], v[112:113]
	v_fma_f64 v[112:113], v[56:57], s[14:15], -v[46:47]
	v_mul_f64 v[44:45], v[44:45], s[24:25]
	v_fmac_f64_e32 v[46:47], s[14:15], v[56:57]
	v_add_f64 v[106:107], v[106:107], v[114:115]
	v_fma_f64 v[114:115], s[14:15], v[58:59], v[44:45]
	v_add_f64 v[46:47], v[46:47], v[54:55]
	v_fma_f64 v[44:45], v[58:59], s[14:15], -v[44:45]
	v_add_f64 v[54:55], v[38:39], v[42:43]
	v_add_f64 v[38:39], v[38:39], -v[42:43]
	v_add_f64 v[44:45], v[44:45], v[52:53]
	v_add_f64 v[52:53], v[36:37], v[40:41]
	v_add_f64 v[36:37], v[36:37], -v[40:41]
	v_mul_f64 v[40:41], v[38:39], s[24:25]
	v_fma_f64 v[42:43], v[52:53], s[14:15], -v[40:41]
	v_add_f64 v[42:43], v[42:43], v[50:51]
	v_mul_f64 v[50:51], v[36:37], s[24:25]
	v_fmac_f64_e32 v[40:41], s[14:15], v[52:53]
	v_fma_f64 v[56:57], s[14:15], v[54:55], v[50:51]
	v_add_f64 v[40:41], v[40:41], v[48:49]
	v_fma_f64 v[48:49], v[54:55], s[14:15], -v[50:51]
	v_mul_f64 v[50:51], v[38:39], s[36:37]
	v_add_f64 v[102:103], v[102:103], v[110:111]
	v_fma_f64 v[110:111], s[0:1], v[58:59], v[108:109]
	v_fma_f64 v[108:109], v[58:59], s[0:1], -v[108:109]
	v_fma_f64 v[58:59], v[52:53], s[12:13], -v[50:51]
	v_fmac_f64_e32 v[50:51], s[12:13], v[52:53]
	v_add_f64 v[48:49], v[48:49], v[80:81]
	v_mul_f64 v[80:81], v[36:37], s[36:37]
	v_add_f64 v[50:51], v[50:51], v[82:83]
	v_mul_f64 v[82:83], v[38:39], s[18:19]
	v_add_f64 v[56:57], v[56:57], v[84:85]
	v_add_f64 v[58:59], v[58:59], v[86:87]
	v_fma_f64 v[84:85], s[12:13], v[54:55], v[80:81]
	v_fma_f64 v[80:81], v[54:55], s[12:13], -v[80:81]
	v_fma_f64 v[86:87], v[52:53], s[0:1], -v[82:83]
	v_fmac_f64_e32 v[82:83], s[0:1], v[52:53]
	v_add_f64 v[80:81], v[80:81], v[88:89]
	v_mul_f64 v[88:89], v[36:37], s[18:19]
	v_add_f64 v[82:83], v[82:83], v[90:91]
	v_mul_f64 v[90:91], v[38:39], s[28:29]
	v_add_f64 v[118:119], v[118:119], v[126:127]
	v_add_f64 v[120:121], v[120:121], v[128:129]
	;; [unrolled: 1-line block ×4, first 2 shown]
	v_fma_f64 v[96:97], s[0:1], v[54:55], v[88:89]
	v_fma_f64 v[88:89], v[54:55], s[0:1], -v[88:89]
	v_fma_f64 v[98:99], v[52:53], s[22:23], -v[90:91]
	v_fmac_f64_e32 v[90:91], s[22:23], v[52:53]
	v_mul_f64 v[38:39], v[38:39], s[38:39]
	v_add_f64 v[116:117], v[116:117], v[124:125]
	v_add_f64 v[122:123], v[122:123], v[130:131]
	;; [unrolled: 1-line block ×5, first 2 shown]
	v_mul_f64 v[100:101], v[36:37], s[28:29]
	v_add_f64 v[90:91], v[90:91], v[104:105]
	v_fma_f64 v[104:105], v[52:53], s[10:11], -v[38:39]
	v_mul_f64 v[36:37], v[36:37], s[38:39]
	v_add_f64 v[118:119], v[30:31], -v[34:35]
	v_add_f64 v[108:109], v[108:109], v[116:117]
	v_add_f64 v[114:115], v[114:115], v[122:123]
	;; [unrolled: 1-line block ×4, first 2 shown]
	v_fma_f64 v[106:107], s[10:11], v[54:55], v[36:37]
	v_add_f64 v[112:113], v[28:29], v[32:33]
	v_add_f64 v[116:117], v[28:29], -v[32:33]
	v_mul_f64 v[28:29], v[118:119], s[28:29]
	v_add_f64 v[96:97], v[96:97], v[102:103]
	v_fma_f64 v[102:103], s[22:23], v[54:55], v[100:101]
	v_add_f64 v[106:107], v[106:107], v[114:115]
	v_fma_f64 v[36:37], v[54:55], s[10:11], -v[36:37]
	v_add_f64 v[114:115], v[30:31], v[34:35]
	v_fma_f64 v[30:31], v[112:113], s[22:23], -v[28:29]
	v_add_f64 v[102:103], v[102:103], v[110:111]
	v_add_f64 v[110:111], v[36:37], v[44:45]
	;; [unrolled: 1-line block ×3, first 2 shown]
	v_mul_f64 v[30:31], v[116:117], s[28:29]
	v_fma_f64 v[100:101], v[54:55], s[22:23], -v[100:101]
	v_fmac_f64_e32 v[38:39], s[10:11], v[52:53]
	v_fma_f64 v[32:33], s[22:23], v[114:115], v[30:31]
	v_add_f64 v[100:101], v[100:101], v[108:109]
	v_add_f64 v[108:109], v[38:39], v[46:47]
	;; [unrolled: 1-line block ×3, first 2 shown]
	v_mul_f64 v[32:33], v[118:119], s[30:31]
	v_fma_f64 v[34:35], v[112:113], s[0:1], -v[32:33]
	v_fmac_f64_e32 v[28:29], s[22:23], v[112:113]
	v_add_f64 v[44:45], v[34:35], v[58:59]
	v_mul_f64 v[34:35], v[116:117], s[30:31]
	v_add_f64 v[28:29], v[28:29], v[40:41]
	v_fma_f64 v[40:41], s[0:1], v[114:115], v[34:35]
	v_add_f64 v[46:47], v[40:41], v[84:85]
	v_mul_f64 v[40:41], v[118:119], s[24:25]
	v_fma_f64 v[30:31], v[114:115], s[22:23], -v[30:31]
	v_fma_f64 v[42:43], v[112:113], s[14:15], -v[40:41]
	v_add_f64 v[30:31], v[30:31], v[48:49]
	v_fmac_f64_e32 v[32:33], s[0:1], v[112:113]
	v_add_f64 v[48:49], v[42:43], v[86:87]
	v_mul_f64 v[42:43], v[116:117], s[24:25]
	v_fmac_f64_e32 v[40:41], s[14:15], v[112:113]
	v_mul_f64 v[52:53], v[118:119], s[38:39]
	v_mul_f64 v[86:87], v[116:117], s[20:21]
	v_add_f64 v[32:33], v[32:33], v[50:51]
	v_fma_f64 v[50:51], s[14:15], v[114:115], v[42:43]
	v_add_f64 v[40:41], v[40:41], v[82:83]
	v_fma_f64 v[42:43], v[114:115], s[14:15], -v[42:43]
	v_fma_f64 v[54:55], v[112:113], s[10:11], -v[52:53]
	v_fma_f64 v[82:83], s[12:13], v[114:115], v[86:87]
	v_fma_f64 v[86:87], v[114:115], s[12:13], -v[86:87]
	v_add_f64 v[130:131], v[6:7], -v[74:75]
	v_fma_f64 v[34:35], v[114:115], s[0:1], -v[34:35]
	v_add_f64 v[42:43], v[42:43], v[88:89]
	v_add_f64 v[56:57], v[54:55], v[98:99]
	v_mul_f64 v[54:55], v[116:117], s[38:39]
	v_fmac_f64_e32 v[52:53], s[10:11], v[112:113]
	v_mul_f64 v[84:85], v[118:119], s[20:21]
	v_add_f64 v[86:87], v[86:87], v[110:111]
	v_add_f64 v[110:111], v[4:5], v[72:73]
	v_add_f64 v[116:117], v[4:5], -v[72:73]
	v_mul_f64 v[88:89], v[130:131], s[18:19]
	v_add_f64 v[34:35], v[34:35], v[80:81]
	v_add_f64 v[50:51], v[50:51], v[96:97]
	;; [unrolled: 1-line block ×3, first 2 shown]
	v_fma_f64 v[80:81], v[112:113], s[12:13], -v[84:85]
	v_add_f64 v[140:141], v[6:7], v[74:75]
	v_mul_f64 v[90:91], v[116:117], s[18:19]
	v_fma_f64 v[96:97], s[0:1], v[110:111], v[88:89]
	v_add_f64 v[80:81], v[80:81], v[104:105]
	v_add_f64 v[104:105], v[0:1], v[96:97]
	v_fma_f64 v[96:97], v[140:141], s[0:1], -v[90:91]
	v_mul_f64 v[98:99], v[130:131], s[26:27]
	v_add_f64 v[82:83], v[82:83], v[106:107]
	v_add_f64 v[106:107], v[2:3], v[96:97]
	v_fma_f64 v[96:97], s[10:11], v[110:111], v[98:99]
	v_add_f64 v[150:151], v[10:11], -v[70:71]
	v_fma_f64 v[58:59], s[10:11], v[114:115], v[54:55]
	v_fma_f64 v[54:55], v[114:115], s[10:11], -v[54:55]
	v_fmac_f64_e32 v[84:85], s[12:13], v[112:113]
	v_add_f64 v[128:129], v[0:1], v[96:97]
	v_add_f64 v[118:119], v[8:9], v[68:69]
	v_add_f64 v[126:127], v[8:9], -v[68:69]
	v_mul_f64 v[96:97], v[150:151], s[26:27]
	v_add_f64 v[54:55], v[54:55], v[100:101]
	v_add_f64 v[84:85], v[84:85], v[108:109]
	;; [unrolled: 1-line block ×3, first 2 shown]
	v_mul_f64 v[100:101], v[126:127], s[26:27]
	v_fma_f64 v[108:109], s[10:11], v[118:119], v[96:97]
	v_add_f64 v[108:109], v[108:109], v[104:105]
	v_fma_f64 v[104:105], v[156:157], s[10:11], -v[100:101]
	v_add_f64 v[172:173], v[14:15], -v[66:67]
	v_add_f64 v[112:113], v[104:105], v[106:107]
	v_add_f64 v[124:125], v[12:13], v[64:65]
	v_add_f64 v[146:147], v[12:13], -v[64:65]
	v_mul_f64 v[104:105], v[172:173], s[20:21]
	v_add_f64 v[182:183], v[14:15], v[66:67]
	v_mul_f64 v[106:107], v[146:147], s[20:21]
	v_fma_f64 v[114:115], s[12:13], v[124:125], v[104:105]
	v_add_f64 v[114:115], v[114:115], v[108:109]
	v_fma_f64 v[108:109], v[182:183], s[12:13], -v[106:107]
	v_add_f64 v[186:187], v[18:19], -v[62:63]
	v_add_f64 v[120:121], v[108:109], v[112:113]
	v_add_f64 v[148:149], v[16:17], v[60:61]
	v_add_f64 v[174:175], v[16:17], -v[60:61]
	v_mul_f64 v[108:109], v[186:187], s[24:25]
	v_add_f64 v[160:161], v[18:19], v[62:63]
	;; [unrolled: 10-line block ×3, first 2 shown]
	v_mul_f64 v[120:121], v[190:191], s[28:29]
	v_fma_f64 v[134:135], s[22:23], v[162:163], v[114:115]
	v_add_f64 v[134:135], v[134:135], v[122:123]
	v_fma_f64 v[122:123], v[164:165], s[22:23], -v[120:121]
	v_add_f64 v[136:137], v[122:123], v[132:133]
	v_mul_f64 v[122:123], v[150:151], s[24:25]
	v_add_f64 v[58:59], v[58:59], v[102:103]
	v_mul_f64 v[102:103], v[116:117], s[26:27]
	v_accvgpr_write_b32 a48, v134
	v_fma_f64 v[132:133], s[14:15], v[118:119], v[122:123]
	v_accvgpr_write_b32 a49, v135
	v_accvgpr_write_b32 a50, v136
	;; [unrolled: 1-line block ×3, first 2 shown]
	v_add_f64 v[132:133], v[132:133], v[128:129]
	v_fma_f64 v[128:129], v[140:141], s[10:11], -v[102:103]
	v_mul_f64 v[134:135], v[126:127], s[24:25]
	v_add_f64 v[128:129], v[2:3], v[128:129]
	v_fma_f64 v[136:137], v[156:157], s[14:15], -v[134:135]
	v_add_f64 v[136:137], v[136:137], v[128:129]
	v_mul_f64 v[128:129], v[172:173], s[34:35]
	v_fma_f64 v[138:139], s[22:23], v[124:125], v[128:129]
	v_add_f64 v[142:143], v[138:139], v[132:133]
	v_mul_f64 v[138:139], v[146:147], s[34:35]
	v_fma_f64 v[132:133], v[182:183], s[22:23], -v[138:139]
	v_add_f64 v[136:137], v[132:133], v[136:137]
	v_mul_f64 v[132:133], v[186:187], s[36:37]
	v_fma_f64 v[144:145], s[12:13], v[148:149], v[132:133]
	v_add_f64 v[144:145], v[144:145], v[142:143]
	v_mul_f64 v[142:143], v[174:175], s[36:37]
	v_fma_f64 v[152:153], v[160:161], s[12:13], -v[142:143]
	v_add_f64 v[152:153], v[152:153], v[136:137]
	v_mul_f64 v[136:137], v[202:203], s[30:31]
	v_fma_f64 v[154:155], s[0:1], v[162:163], v[136:137]
	v_add_f64 v[166:167], v[154:155], v[144:145]
	v_mul_f64 v[144:145], v[190:191], s[30:31]
	v_fma_f64 v[154:155], v[164:165], s[0:1], -v[144:145]
	v_add_f64 v[168:169], v[154:155], v[152:153]
	v_mul_f64 v[152:153], v[130:131], s[20:21]
	v_fma_f64 v[154:155], s[12:13], v[110:111], v[152:153]
	v_accvgpr_write_b32 a52, v166
	v_add_f64 v[158:159], v[0:1], v[154:155]
	v_mul_f64 v[154:155], v[150:151], s[34:35]
	v_accvgpr_write_b32 a53, v167
	v_accvgpr_write_b32 a54, v168
	;; [unrolled: 1-line block ×3, first 2 shown]
	v_fma_f64 v[166:167], s[22:23], v[118:119], v[154:155]
	v_add_f64 v[168:169], v[166:167], v[158:159]
	v_mul_f64 v[166:167], v[116:117], s[20:21]
	v_fma_f64 v[158:159], v[140:141], s[12:13], -v[166:167]
	v_mul_f64 v[170:171], v[126:127], s[34:35]
	v_add_f64 v[158:159], v[2:3], v[158:159]
	v_fma_f64 v[176:177], v[156:157], s[22:23], -v[170:171]
	v_add_f64 v[176:177], v[176:177], v[158:159]
	v_mul_f64 v[158:159], v[172:173], s[38:39]
	v_fma_f64 v[178:179], s[10:11], v[124:125], v[158:159]
	v_add_f64 v[180:181], v[178:179], v[168:169]
	v_mul_f64 v[178:179], v[146:147], s[38:39]
	v_fma_f64 v[168:169], v[182:183], s[10:11], -v[178:179]
	v_add_f64 v[176:177], v[168:169], v[176:177]
	v_mul_f64 v[168:169], v[186:187], s[18:19]
	v_fma_f64 v[184:185], s[0:1], v[148:149], v[168:169]
	v_add_f64 v[184:185], v[184:185], v[180:181]
	v_mul_f64 v[180:181], v[174:175], s[18:19]
	;; [unrolled: 6-line block ×3, first 2 shown]
	v_fma_f64 v[192:193], v[164:165], s[14:15], -v[184:185]
	v_add_f64 v[196:197], v[192:193], v[188:189]
	v_mul_f64 v[188:189], v[130:131], s[24:25]
	v_accvgpr_write_b32 a56, v194
	v_fma_f64 v[192:193], s[14:15], v[110:111], v[188:189]
	v_accvgpr_write_b32 a57, v195
	v_accvgpr_write_b32 a58, v196
	;; [unrolled: 1-line block ×3, first 2 shown]
	v_add_f64 v[194:195], v[0:1], v[192:193]
	v_mul_f64 v[192:193], v[150:151], s[36:37]
	v_fma_f64 v[196:197], s[12:13], v[118:119], v[192:193]
	v_add_f64 v[198:199], v[196:197], v[194:195]
	v_mul_f64 v[196:197], v[116:117], s[24:25]
	v_fma_f64 v[194:195], v[140:141], s[14:15], -v[196:197]
	v_mul_f64 v[200:201], v[126:127], s[36:37]
	v_add_f64 v[194:195], v[2:3], v[194:195]
	v_fma_f64 v[204:205], v[156:157], s[12:13], -v[200:201]
	v_add_f64 v[204:205], v[204:205], v[194:195]
	v_mul_f64 v[194:195], v[172:173], s[18:19]
	v_fma_f64 v[206:207], s[0:1], v[124:125], v[194:195]
	v_mul_f64 v[208:209], v[146:147], s[18:19]
	v_add_f64 v[206:207], v[206:207], v[198:199]
	v_fma_f64 v[198:199], v[182:183], s[0:1], -v[208:209]
	v_add_f64 v[204:205], v[198:199], v[204:205]
	v_mul_f64 v[198:199], v[186:187], s[28:29]
	v_fma_f64 v[210:211], s[22:23], v[148:149], v[198:199]
	v_add_f64 v[212:213], v[210:211], v[206:207]
	v_mul_f64 v[210:211], v[174:175], s[28:29]
	v_fma_f64 v[206:207], v[160:161], s[22:23], -v[210:211]
	v_add_f64 v[204:205], v[206:207], v[204:205]
	v_mul_f64 v[206:207], v[202:203], s[38:39]
	v_fma_f64 v[214:215], s[10:11], v[162:163], v[206:207]
	v_add_f64 v[216:217], v[214:215], v[212:213]
	v_mul_f64 v[212:213], v[190:191], s[38:39]
	v_fma_f64 v[214:215], v[164:165], s[10:11], -v[212:213]
	v_mul_lo_u16_e32 v93, 11, v234
	s_mov_b64 s[40:41], 0x63
	v_add_f64 v[218:219], v[214:215], v[204:205]
	v_lshlrev_b32_e32 v93, 4, v93
	v_lshl_add_u64 v[204:205], v[234:235], 0, s[40:41]
	v_accvgpr_write_b32 a60, v216
	s_barrier
	ds_write_b128 v93, v[76:79]
	ds_write_b128 v93, v[36:39] offset:16
	ds_write_b128 v93, v[44:47] offset:32
	;; [unrolled: 1-line block ×10, first 2 shown]
	v_mul_u32_u24_e32 v28, 11, v204
	v_accvgpr_write_b32 a61, v217
	v_accvgpr_write_b32 a62, v218
	;; [unrolled: 1-line block ×4, first 2 shown]
	s_and_saveexec_b64 s[40:41], vcc
	s_cbranch_execz .LBB0_7
; %bb.6:
	v_mul_f64 v[50:51], v[140:141], s[0:1]
	v_mul_f64 v[46:47], v[140:141], s[10:11]
	;; [unrolled: 1-line block ×11, first 2 shown]
	v_fma_f64 v[232:233], s[34:35], v[116:117], v[140:141]
	v_mul_f64 v[86:87], v[182:183], s[12:13]
	v_mul_f64 v[216:217], v[182:183], s[22:23]
	v_mul_f64 v[220:221], v[182:183], s[10:11]
	v_mul_f64 v[224:225], v[182:183], s[0:1]
	v_fma_f64 v[30:31], s[26:27], v[174:175], v[34:35]
	v_mul_f64 v[182:183], v[182:183], s[14:15]
	s_mov_b32 s27, 0x3fe82f19
	s_mov_b32 s26, s24
	v_fma_f64 v[230:231], s[18:19], v[126:127], v[156:157]
	v_add_f64 v[232:233], v[2:3], v[232:233]
	v_add_f64 v[230:231], v[230:231], v[232:233]
	v_fma_f64 v[232:233], s[26:27], v[146:147], v[182:183]
	v_mul_f64 v[32:33], v[164:165], s[12:13]
	v_add_f64 v[230:231], v[232:233], v[230:231]
	v_mul_f64 v[130:131], v[130:131], s[28:29]
	v_fmac_f64_e32 v[140:141], s[28:29], v[116:117]
	v_fma_f64 v[28:29], s[36:37], v[190:191], v[32:33]
	v_add_f64 v[30:31], v[30:31], v[230:231]
	v_mul_f64 v[150:151], v[150:151], s[30:31]
	v_fma_f64 v[230:231], s[22:23], v[110:111], v[130:131]
	v_fmac_f64_e32 v[156:157], s[30:31], v[126:127]
	v_add_f64 v[140:141], v[2:3], v[140:141]
	v_add_f64 v[30:31], v[28:29], v[30:31]
	v_mul_f64 v[172:173], v[172:173], s[24:25]
	v_fma_f64 v[28:29], s[0:1], v[118:119], v[150:151]
	v_add_f64 v[230:231], v[0:1], v[230:231]
	v_fmac_f64_e32 v[182:183], s[24:25], v[146:147]
	v_add_f64 v[140:141], v[156:157], v[140:141]
	v_mul_f64 v[186:187], v[186:187], s[38:39]
	v_add_f64 v[28:29], v[28:29], v[230:231]
	v_fma_f64 v[230:231], s[14:15], v[124:125], v[172:173]
	v_fmac_f64_e32 v[34:35], s[38:39], v[174:175]
	v_add_f64 v[140:141], v[182:183], v[140:141]
	v_add_f64 v[38:39], v[196:197], v[38:39]
	v_mul_f64 v[48:49], v[110:111], s[0:1]
	v_mul_f64 v[44:45], v[110:111], s[10:11]
	v_mul_f64 v[40:41], v[110:111], s[12:13]
	v_mul_f64 v[36:37], v[110:111], s[14:15]
	v_mul_f64 v[202:203], v[202:203], s[20:21]
	v_add_f64 v[28:29], v[230:231], v[28:29]
	v_fma_f64 v[230:231], s[10:11], v[148:149], v[186:187]
	v_fmac_f64_e32 v[32:33], s[20:21], v[190:191]
	v_add_f64 v[34:35], v[34:35], v[140:141]
	v_fma_f64 v[110:111], v[110:111], s[22:23], -v[130:131]
	v_add_f64 v[82:83], v[200:201], v[82:83]
	v_add_f64 v[38:39], v[2:3], v[38:39]
	v_mul_f64 v[52:53], v[118:119], s[10:11]
	v_mul_f64 v[56:57], v[118:119], s[14:15]
	;; [unrolled: 1-line block ×9, first 2 shown]
	v_add_f64 v[28:29], v[230:231], v[28:29]
	v_fma_f64 v[230:231], s[12:13], v[162:163], v[202:203]
	v_mul_f64 v[232:233], v[160:161], s[12:13]
	v_mul_f64 v[174:175], v[160:161], s[0:1]
	;; [unrolled: 1-line block ×3, first 2 shown]
	v_add_f64 v[34:35], v[32:33], v[34:35]
	v_fma_f64 v[32:33], v[124:125], s[14:15], -v[172:173]
	v_fma_f64 v[118:119], v[118:119], s[0:1], -v[150:151]
	v_add_f64 v[110:111], v[0:1], v[110:111]
	v_add_f64 v[124:125], v[208:209], v[224:225]
	v_add_f64 v[38:39], v[82:83], v[38:39]
	v_add_f64 v[36:37], v[36:37], -v[188:189]
	v_mul_f64 v[226:227], v[148:149], s[14:15]
	v_add_f64 v[28:29], v[230:231], v[28:29]
	v_mul_f64 v[230:231], v[148:149], s[12:13]
	v_mul_f64 v[190:191], v[148:149], s[0:1]
	;; [unrolled: 1-line block ×5, first 2 shown]
	v_fma_f64 v[148:149], v[148:149], s[10:11], -v[186:187]
	v_mul_f64 v[186:187], v[164:165], s[14:15]
	v_mul_f64 v[164:165], v[164:165], s[10:11]
	v_add_f64 v[110:111], v[118:119], v[110:111]
	v_add_f64 v[118:119], v[210:211], v[160:161]
	;; [unrolled: 1-line block ×3, first 2 shown]
	v_add_f64 v[80:81], v[80:81], -v[192:193]
	v_add_f64 v[36:37], v[0:1], v[36:37]
	v_add_f64 v[32:33], v[32:33], v[110:111]
	;; [unrolled: 1-line block ×4, first 2 shown]
	v_add_f64 v[118:119], v[222:223], -v[194:195]
	v_add_f64 v[36:37], v[80:81], v[36:37]
	v_add_f64 v[42:43], v[166:167], v[42:43]
	v_mul_f64 v[126:127], v[162:163], s[22:23]
	v_mul_f64 v[156:157], v[162:163], s[0:1]
	v_mul_f64 v[140:141], v[162:163], s[14:15]
	v_fma_f64 v[202:203], v[162:163], s[12:13], -v[202:203]
	v_mul_f64 v[162:163], v[162:163], s[10:11]
	v_add_f64 v[38:39], v[110:111], v[38:39]
	v_add_f64 v[110:111], v[146:147], -v[198:199]
	v_add_f64 v[36:37], v[118:119], v[36:37]
	v_add_f64 v[78:79], v[170:171], v[78:79]
	v_add_f64 v[42:43], v[2:3], v[42:43]
	v_add_f64 v[82:83], v[162:163], -v[206:207]
	v_add_f64 v[36:37], v[110:111], v[36:37]
	v_add_f64 v[110:111], v[178:179], v[220:221]
	;; [unrolled: 4-line block ×5, first 2 shown]
	v_add_f64 v[44:45], v[44:45], -v[98:99]
	v_add_f64 v[50:51], v[90:91], v[50:51]
	v_add_f64 v[48:49], v[48:49], -v[88:89]
	v_add_f64 v[42:43], v[80:81], v[42:43]
	;; [unrolled: 2-line block ×3, first 2 shown]
	v_add_f64 v[58:59], v[134:135], v[58:59]
	v_add_f64 v[46:47], v[2:3], v[46:47]
	;; [unrolled: 1-line block ×7, first 2 shown]
	v_add_f64 v[78:79], v[140:141], -v[176:177]
	v_add_f64 v[40:41], v[80:81], v[40:41]
	v_add_f64 v[80:81], v[138:139], v[216:217]
	;; [unrolled: 1-line block ×8, first 2 shown]
	v_add_f64 v[56:57], v[56:57], -v[122:123]
	v_add_f64 v[2:3], v[2:3], v[14:15]
	v_add_f64 v[0:1], v[0:1], v[12:13]
	v_add_f64 v[76:77], v[144:145], v[182:183]
	v_add_f64 v[46:47], v[78:79], v[46:47]
	v_add_f64 v[78:79], v[214:215], -v[128:129]
	v_add_f64 v[44:45], v[56:57], v[44:45]
	v_add_f64 v[2:3], v[2:3], v[18:19]
	v_add_f64 v[0:1], v[0:1], v[16:17]
	v_add_f64 v[46:47], v[76:77], v[46:47]
	;; [unrolled: 5-line block ×4, first 2 shown]
	v_add_f64 v[0:1], v[0:1], v[24:25]
	v_add_f64 v[44:45], v[58:59], v[44:45]
	v_add_f64 v[58:59], v[112:113], v[228:229]
	v_add_f64 v[50:51], v[76:77], v[50:51]
	v_add_f64 v[52:53], v[52:53], -v[96:97]
	v_add_f64 v[2:3], v[2:3], v[62:63]
	v_add_f64 v[0:1], v[0:1], v[60:61]
	v_add_f64 v[56:57], v[120:121], v[116:117]
	v_add_f64 v[50:51], v[58:59], v[50:51]
	v_add_f64 v[58:59], v[84:85], -v[104:105]
	;; [unrolled: 5-line block ×3, first 2 shown]
	v_add_f64 v[48:49], v[58:59], v[48:49]
	v_add_f64 v[2:3], v[2:3], v[70:71]
	;; [unrolled: 1-line block ×3, first 2 shown]
	v_accvgpr_read_b32 v4, a1
	v_add_f64 v[32:33], v[148:149], v[32:33]
	v_add_f64 v[54:55], v[126:127], -v[114:115]
	v_add_f64 v[48:49], v[56:57], v[48:49]
	v_add_f64 v[2:3], v[2:3], v[74:75]
	;; [unrolled: 1-line block ×3, first 2 shown]
	v_lshlrev_b32_e32 v4, 4, v4
	v_add_f64 v[32:33], v[202:203], v[32:33]
	v_add_f64 v[48:49], v[54:55], v[48:49]
	ds_write_b128 v4, v[0:3]
	ds_write_b128 v4, v[48:51] offset:16
	ds_write_b128 v4, v[44:47] offset:32
	;; [unrolled: 1-line block ×10, first 2 shown]
.LBB0_7:
	s_or_b64 exec, exec, s[40:41]
	s_mov_b64 s[0:1], 0xc6
	v_lshl_add_u64 v[68:69], v[234:235], 0, s[0:1]
	s_movk_i32 s0, 0x75
	v_mul_lo_u16_sdwa v70, v234, s0 dst_sel:DWORD dst_unused:UNUSED_PAD src0_sel:BYTE_0 src1_sel:DWORD
	v_sub_u16_sdwa v71, v234, v70 dst_sel:DWORD dst_unused:UNUSED_PAD src0_sel:DWORD src1_sel:BYTE_1
	v_lshrrev_b16_e32 v71, 1, v71
	v_and_b32_e32 v71, 0x7f, v71
	v_add_u16_sdwa v70, v71, v70 dst_sel:DWORD dst_unused:UNUSED_PAD src0_sel:DWORD src1_sel:BYTE_1
	v_lshrrev_b16_e32 v82, 3, v70
	v_mul_lo_u16_e32 v70, 11, v82
	v_sub_u16_e32 v70, v234, v70
	v_and_b32_e32 v83, 0xff, v70
	v_lshlrev_b32_e32 v70, 5, v83
	s_waitcnt lgkmcnt(0)
	s_barrier
	ds_read_b128 v[4:7], v92
	ds_read_b128 v[72:75], v92 offset:9504
	ds_read_b128 v[76:79], v92 offset:19008
	;; [unrolled: 1-line block ×17, first 2 shown]
	global_load_dwordx4 v[124:127], v70, s[8:9] offset:16
	global_load_dwordx4 v[128:131], v70, s[8:9]
	v_add_u32_e32 v81, 0x129, v234
	v_add_u32_e32 v80, 0x18c, v234
	;; [unrolled: 1-line block ×3, first 2 shown]
	s_mov_b32 s10, 0xe8584caa
	s_mov_b32 s11, 0x3febb67a
	;; [unrolled: 1-line block ×4, first 2 shown]
	v_mov_b32_e32 v67, 0
	v_lshlrev_b32_e32 v66, 4, v234
	v_lshl_add_u64 v[64:65], s[16:17], 0, v[66:67]
	s_mov_b64 s[14:15], 0x11e0
	s_movk_i32 s16, 0x1000
	v_accvgpr_write_b32 a0, v234
	s_waitcnt vmcnt(1) lgkmcnt(14)
	v_mul_f64 v[108:109], v[76:77], v[126:127]
	s_waitcnt vmcnt(0)
	v_mul_f64 v[70:71], v[74:75], v[130:131]
	v_fma_f64 v[70:71], v[72:73], v[128:129], -v[70:71]
	v_mul_f64 v[72:73], v[72:73], v[130:131]
	v_fmac_f64_e32 v[72:73], v[74:75], v[128:129]
	v_mul_f64 v[74:75], v[78:79], v[126:127]
	v_fma_f64 v[74:75], v[76:77], v[124:125], -v[74:75]
	v_mul_lo_u16_sdwa v76, v204, s0 dst_sel:DWORD dst_unused:UNUSED_PAD src0_sel:BYTE_0 src1_sel:DWORD
	v_sub_u16_sdwa v77, v204, v76 dst_sel:DWORD dst_unused:UNUSED_PAD src0_sel:DWORD src1_sel:BYTE_1
	v_lshrrev_b16_e32 v77, 1, v77
	v_and_b32_e32 v77, 0x7f, v77
	v_add_u16_sdwa v76, v77, v76 dst_sel:DWORD dst_unused:UNUSED_PAD src0_sel:DWORD src1_sel:BYTE_1
	v_lshrrev_b16_e32 v112, 3, v76
	v_mul_lo_u16_e32 v76, 11, v112
	v_sub_u16_e32 v76, v204, v76
	v_and_b32_e32 v113, 0xff, v76
	v_lshlrev_b32_e32 v76, 5, v113
	global_load_dwordx4 v[132:135], v76, s[8:9] offset:16
	global_load_dwordx4 v[136:139], v76, s[8:9]
	s_mov_b32 s0, 0xba2f
	v_fmac_f64_e32 v[108:109], v[78:79], v[124:125]
	s_waitcnt vmcnt(0) lgkmcnt(13)
	v_mul_f64 v[76:77], v[54:55], v[138:139]
	v_fma_f64 v[110:111], v[52:53], v[136:137], -v[76:77]
	v_mul_f64 v[52:53], v[52:53], v[138:139]
	v_fmac_f64_e32 v[52:53], v[54:55], v[136:137]
	s_waitcnt lgkmcnt(12)
	v_mul_f64 v[54:55], v[50:51], v[134:135]
	v_fma_f64 v[54:55], v[48:49], v[132:133], -v[54:55]
	v_mul_f64 v[48:49], v[48:49], v[134:135]
	v_fmac_f64_e32 v[48:49], v[50:51], v[132:133]
	v_mul_u32_u24_sdwa v50, v68, s0 dst_sel:DWORD dst_unused:UNUSED_PAD src0_sel:WORD_0 src1_sel:DWORD
	v_lshrrev_b32_e32 v114, 19, v50
	v_mul_lo_u16_e32 v50, 11, v114
	v_sub_u16_e32 v115, v68, v50
	v_lshlrev_b16_e32 v50, 1, v115
	v_lshlrev_b32_e32 v50, 4, v50
	global_load_dwordx4 v[140:143], v50, s[8:9] offset:16
	global_load_dwordx4 v[76:79], v50, s[8:9]
	s_waitcnt vmcnt(0) lgkmcnt(10)
	v_mul_f64 v[50:51], v[62:63], v[78:79]
	v_fma_f64 v[50:51], v[60:61], v[76:77], -v[50:51]
	v_mul_f64 v[60:61], v[60:61], v[78:79]
	v_fmac_f64_e32 v[60:61], v[62:63], v[76:77]
	s_waitcnt lgkmcnt(9)
	v_mul_f64 v[62:63], v[58:59], v[142:143]
	v_fma_f64 v[62:63], v[56:57], v[140:141], -v[62:63]
	v_mul_f64 v[56:57], v[56:57], v[142:143]
	v_fmac_f64_e32 v[56:57], v[58:59], v[140:141]
	v_mul_u32_u24_sdwa v58, v81, s0 dst_sel:DWORD dst_unused:UNUSED_PAD src0_sel:WORD_0 src1_sel:DWORD
	v_lshrrev_b32_e32 v116, 19, v58
	v_mul_lo_u16_e32 v58, 11, v116
	v_sub_u16_e32 v117, v81, v58
	v_lshlrev_b16_e32 v58, 1, v117
	v_accvgpr_write_b32 a68, v76
	v_lshlrev_b32_e32 v58, 4, v58
	v_accvgpr_write_b32 a69, v77
	v_accvgpr_write_b32 a70, v78
	;; [unrolled: 1-line block ×3, first 2 shown]
	global_load_dwordx4 v[76:79], v58, s[8:9] offset:16
	global_load_dwordx4 v[84:87], v58, s[8:9]
	s_waitcnt vmcnt(1)
	v_accvgpr_write_b32 a72, v76
	s_waitcnt vmcnt(0) lgkmcnt(7)
	v_mul_f64 v[58:59], v[46:47], v[86:87]
	v_fma_f64 v[58:59], v[44:45], v[84:85], -v[58:59]
	v_mul_f64 v[44:45], v[44:45], v[86:87]
	v_fmac_f64_e32 v[44:45], v[46:47], v[84:85]
	s_waitcnt lgkmcnt(6)
	v_mul_f64 v[46:47], v[42:43], v[78:79]
	v_fma_f64 v[46:47], v[40:41], v[76:77], -v[46:47]
	v_mul_f64 v[40:41], v[40:41], v[78:79]
	v_fmac_f64_e32 v[40:41], v[42:43], v[76:77]
	v_mul_u32_u24_sdwa v42, v80, s0 dst_sel:DWORD dst_unused:UNUSED_PAD src0_sel:WORD_0 src1_sel:DWORD
	v_lshrrev_b32_e32 v118, 19, v42
	v_mul_lo_u16_e32 v42, 11, v118
	v_sub_u16_e32 v119, v80, v42
	v_lshlrev_b16_e32 v42, 1, v119
	v_accvgpr_write_b32 a76, v84
	v_lshlrev_b32_e32 v42, 4, v42
	v_accvgpr_write_b32 a77, v85
	v_accvgpr_write_b32 a78, v86
	;; [unrolled: 1-line block ×6, first 2 shown]
	global_load_dwordx4 v[76:79], v42, s[8:9] offset:16
	global_load_dwordx4 v[84:87], v42, s[8:9]
	s_waitcnt vmcnt(1)
	v_accvgpr_write_b32 a83, v79
	s_waitcnt vmcnt(0) lgkmcnt(4)
	v_mul_f64 v[42:43], v[38:39], v[86:87]
	v_fma_f64 v[42:43], v[36:37], v[84:85], -v[42:43]
	v_mul_f64 v[36:37], v[36:37], v[86:87]
	v_fmac_f64_e32 v[36:37], v[38:39], v[84:85]
	s_waitcnt lgkmcnt(3)
	v_mul_f64 v[38:39], v[34:35], v[78:79]
	v_fma_f64 v[38:39], v[32:33], v[76:77], -v[38:39]
	v_mul_f64 v[32:33], v[32:33], v[78:79]
	v_fmac_f64_e32 v[32:33], v[34:35], v[76:77]
	v_mul_u32_u24_sdwa v34, v69, s0 dst_sel:DWORD dst_unused:UNUSED_PAD src0_sel:WORD_0 src1_sel:DWORD
	v_lshrrev_b32_e32 v88, 19, v34
	v_mul_lo_u16_e32 v34, 11, v88
	v_sub_u16_e32 v89, v69, v34
	v_lshlrev_b16_e32 v34, 1, v89
	v_accvgpr_write_b32 a84, v84
	v_lshlrev_b32_e32 v34, 4, v34
	v_accvgpr_write_b32 a85, v85
	v_accvgpr_write_b32 a86, v86
	;; [unrolled: 1-line block ×3, first 2 shown]
	global_load_dwordx4 v[96:99], v34, s[8:9] offset:16
	global_load_dwordx4 v[84:87], v34, s[8:9]
	v_accvgpr_write_b32 a82, v78
	v_accvgpr_write_b32 a81, v77
	;; [unrolled: 1-line block ×3, first 2 shown]
	s_waitcnt lgkmcnt(0)
	s_barrier
	s_movk_i32 s0, 0xf9
	s_waitcnt vmcnt(1)
	v_accvgpr_write_b32 a88, v96
	s_waitcnt vmcnt(0)
	v_accvgpr_write_b32 a95, v87
	v_mul_f64 v[34:35], v[30:31], v[86:87]
	v_mul_f64 v[78:79], v[28:29], v[86:87]
	v_accvgpr_write_b32 a94, v86
	v_accvgpr_write_b32 a93, v85
	;; [unrolled: 1-line block ×3, first 2 shown]
	v_mul_f64 v[86:87], v[24:25], v[98:99]
	v_fma_f64 v[76:77], v[28:29], v[84:85], -v[34:35]
	v_mul_f64 v[28:29], v[26:27], v[98:99]
	v_fmac_f64_e32 v[86:87], v[26:27], v[96:97]
	v_add_f64 v[26:27], v[70:71], v[74:75]
	v_fmac_f64_e32 v[78:79], v[30:31], v[84:85]
	v_fma_f64 v[84:85], v[24:25], v[96:97], -v[28:29]
	v_add_f64 v[24:25], v[4:5], v[70:71]
	v_fmac_f64_e32 v[4:5], -0.5, v[26:27]
	v_add_f64 v[26:27], v[72:73], -v[108:109]
	v_add_f64 v[30:31], v[72:73], v[108:109]
	v_fma_f64 v[28:29], s[10:11], v[26:27], v[4:5]
	v_fmac_f64_e32 v[4:5], s[12:13], v[26:27]
	v_add_f64 v[26:27], v[6:7], v[72:73]
	v_fmac_f64_e32 v[6:7], -0.5, v[30:31]
	v_add_f64 v[34:35], v[70:71], -v[74:75]
	v_fma_f64 v[30:31], s[12:13], v[34:35], v[6:7]
	v_fmac_f64_e32 v[6:7], s[10:11], v[34:35]
	v_add_f64 v[34:35], v[0:1], v[110:111]
	v_add_f64 v[70:71], v[34:35], v[54:55]
	;; [unrolled: 1-line block ×3, first 2 shown]
	v_fmac_f64_e32 v[0:1], -0.5, v[34:35]
	v_add_f64 v[34:35], v[52:53], -v[48:49]
	v_add_f64 v[26:27], v[26:27], v[108:109]
	v_fma_f64 v[108:109], s[10:11], v[34:35], v[0:1]
	v_fmac_f64_e32 v[0:1], s[12:13], v[34:35]
	v_add_f64 v[34:35], v[2:3], v[52:53]
	v_add_f64 v[72:73], v[34:35], v[48:49]
	v_add_f64 v[34:35], v[52:53], v[48:49]
	v_fmac_f64_e32 v[2:3], -0.5, v[34:35]
	v_add_f64 v[34:35], v[110:111], -v[54:55]
	v_fma_f64 v[110:111], s[12:13], v[34:35], v[2:3]
	v_fmac_f64_e32 v[2:3], s[10:11], v[34:35]
	v_add_f64 v[34:35], v[8:9], v[50:51]
	v_add_f64 v[52:53], v[34:35], v[62:63]
	v_add_f64 v[34:35], v[50:51], v[62:63]
	v_fmac_f64_e32 v[8:9], -0.5, v[34:35]
	v_add_f64 v[34:35], v[60:61], -v[56:57]
	;; [unrolled: 7-line block ×9, first 2 shown]
	v_fma_f64 v[122:123], s[12:13], v[32:33], v[18:19]
	v_fmac_f64_e32 v[18:19], s[10:11], v[32:33]
	v_mul_u32_u24_e32 v32, 33, v82
	v_add_f64 v[24:25], v[24:25], v[74:75]
	v_add_lshl_u32 v32, v32, v83, 4
	ds_write_b128 v32, v[24:27]
	ds_write_b128 v32, v[28:31] offset:176
	ds_write_b128 v32, v[4:7] offset:352
	v_mul_u32_u24_e32 v4, 33, v112
	v_add_lshl_u32 v4, v4, v113, 4
	ds_write_b128 v4, v[70:73]
	ds_write_b128 v4, v[108:111] offset:176
	ds_write_b128 v4, v[0:3] offset:352
	v_mad_legacy_u16 v0, v114, 33, v115
	v_lshlrev_b32_e32 v0, 4, v0
	ds_write_b128 v0, v[52:55]
	ds_write_b128 v0, v[48:51] offset:176
	v_accvgpr_write_b32 a98, v0
	ds_write_b128 v0, v[8:11] offset:352
	v_mad_legacy_u16 v0, v116, 33, v117
	v_lshlrev_b32_e32 v0, 4, v0
	ds_write_b128 v0, v[60:63]
	ds_write_b128 v0, v[56:59] offset:176
	v_mul_lo_u16_sdwa v60, v234, s0 dst_sel:DWORD dst_unused:UNUSED_PAD src0_sel:BYTE_0 src1_sel:DWORD
	v_lshrrev_b16_e32 v82, 13, v60
	v_accvgpr_write_b32 a3, v0
	ds_write_b128 v0, v[12:15] offset:352
	v_mad_legacy_u16 v0, v118, 33, v119
	v_mul_lo_u16_e32 v60, 33, v82
	v_lshlrev_b32_e32 v0, 4, v0
	v_sub_u16_e32 v60, v234, v60
	ds_write_b128 v0, v[44:47]
	ds_write_b128 v0, v[34:37] offset:176
	v_accvgpr_write_b32 a96, v0
	ds_write_b128 v0, v[20:23] offset:352
	v_mad_legacy_u16 v0, v88, 33, v89
	v_and_b32_e32 v83, 0xff, v60
	v_lshlrev_b32_e32 v0, 4, v0
	v_lshlrev_b32_e32 v60, 5, v83
	v_accvgpr_write_b32 a116, v32
	v_accvgpr_write_b32 a99, v4
	ds_write_b128 v0, v[38:41]
	ds_write_b128 v0, v[120:123] offset:176
	v_accvgpr_write_b32 a97, v0
	ds_write_b128 v0, v[16:19] offset:352
	s_waitcnt lgkmcnt(0)
	s_barrier
	ds_read_b128 v[20:23], v92
	ds_read_b128 v[70:73], v92 offset:9504
	ds_read_b128 v[116:119], v92 offset:19008
	;; [unrolled: 1-line block ×17, first 2 shown]
	global_load_dwordx4 v[120:123], v60, s[8:9] offset:368
	global_load_dwordx4 v[74:77], v60, s[8:9] offset:352
	v_accvgpr_write_b32 a89, v97
	v_accvgpr_write_b32 a90, v98
	;; [unrolled: 1-line block ×3, first 2 shown]
	s_waitcnt vmcnt(0) lgkmcnt(14)
	v_mul_f64 v[60:61], v[72:73], v[76:77]
	v_mul_f64 v[62:63], v[70:71], v[76:77]
	v_accvgpr_write_b32 a107, v77
	v_fma_f64 v[60:61], v[70:71], v[74:75], -v[60:61]
	v_accvgpr_write_b32 a106, v76
	v_accvgpr_write_b32 a105, v75
	;; [unrolled: 1-line block ×3, first 2 shown]
	v_fmac_f64_e32 v[62:63], v[72:73], v[74:75]
	v_mul_lo_u16_sdwa v74, v204, s0 dst_sel:DWORD dst_unused:UNUSED_PAD src0_sel:BYTE_0 src1_sel:DWORD
	v_lshrrev_b16_e32 v160, 13, v74
	v_mul_lo_u16_e32 v74, 33, v160
	v_sub_u16_e32 v74, v204, v74
	v_and_b32_e32 v161, 0xff, v74
	v_lshlrev_b32_e32 v74, 5, v161
	global_load_dwordx4 v[76:79], v74, s[8:9] offset:368
	global_load_dwordx4 v[84:87], v74, s[8:9] offset:352
	s_mov_b32 s0, 0xf83f
	v_mul_f64 v[70:71], v[118:119], v[122:123]
	v_fma_f64 v[70:71], v[116:117], v[120:121], -v[70:71]
	v_mul_f64 v[72:73], v[116:117], v[122:123]
	v_fmac_f64_e32 v[72:73], v[118:119], v[120:121]
	s_waitcnt vmcnt(1)
	v_accvgpr_write_b32 a111, v79
	s_waitcnt vmcnt(0) lgkmcnt(13)
	v_mul_f64 v[74:75], v[58:59], v[86:87]
	v_fma_f64 v[74:75], v[56:57], v[84:85], -v[74:75]
	v_mul_f64 v[56:57], v[56:57], v[86:87]
	v_fmac_f64_e32 v[56:57], v[58:59], v[84:85]
	s_waitcnt lgkmcnt(12)
	v_mul_f64 v[58:59], v[54:55], v[78:79]
	v_fma_f64 v[58:59], v[52:53], v[76:77], -v[58:59]
	v_mul_f64 v[52:53], v[52:53], v[78:79]
	v_fmac_f64_e32 v[52:53], v[54:55], v[76:77]
	v_mul_u32_u24_sdwa v54, v68, s0 dst_sel:DWORD dst_unused:UNUSED_PAD src0_sel:WORD_0 src1_sel:DWORD
	v_lshrrev_b32_e32 v162, 21, v54
	v_mul_lo_u16_e32 v54, 33, v162
	v_sub_u16_e32 v163, v68, v54
	v_lshlrev_b16_e32 v54, 5, v163
	v_mov_b32_e32 v55, v67
	v_accvgpr_write_b32 a115, v87
	v_lshl_add_u64 v[54:55], s[8:9], 0, v[54:55]
	v_accvgpr_write_b32 a114, v86
	v_accvgpr_write_b32 a113, v85
	;; [unrolled: 1-line block ×6, first 2 shown]
	global_load_dwordx4 v[76:79], v[54:55], off offset:368
	global_load_dwordx4 v[84:87], v[54:55], off offset:352
	s_waitcnt vmcnt(1)
	v_accvgpr_write_b32 a121, v79
	s_waitcnt vmcnt(0) lgkmcnt(10)
	v_mul_f64 v[54:55], v[50:51], v[86:87]
	v_fma_f64 v[54:55], v[48:49], v[84:85], -v[54:55]
	v_mul_f64 v[48:49], v[48:49], v[86:87]
	v_fmac_f64_e32 v[48:49], v[50:51], v[84:85]
	s_waitcnt lgkmcnt(9)
	v_mul_f64 v[50:51], v[46:47], v[78:79]
	v_fma_f64 v[50:51], v[44:45], v[76:77], -v[50:51]
	v_mul_f64 v[44:45], v[44:45], v[78:79]
	v_fmac_f64_e32 v[44:45], v[46:47], v[76:77]
	v_mul_u32_u24_sdwa v46, v81, s0 dst_sel:DWORD dst_unused:UNUSED_PAD src0_sel:WORD_0 src1_sel:DWORD
	v_lshrrev_b32_e32 v164, 21, v46
	v_mul_lo_u16_e32 v46, 33, v164
	v_sub_u16_e32 v165, v81, v46
	v_lshlrev_b16_e32 v46, 5, v165
	v_mov_b32_e32 v47, v67
	v_accvgpr_write_b32 a125, v87
	v_lshl_add_u64 v[46:47], s[8:9], 0, v[46:47]
	v_accvgpr_write_b32 a124, v86
	v_accvgpr_write_b32 a123, v85
	;; [unrolled: 1-line block ×6, first 2 shown]
	global_load_dwordx4 v[76:79], v[46:47], off offset:368
	global_load_dwordx4 v[84:87], v[46:47], off offset:352
	s_waitcnt vmcnt(1)
	v_accvgpr_write_b32 a129, v79
	s_waitcnt vmcnt(0) lgkmcnt(7)
	v_mul_f64 v[46:47], v[42:43], v[86:87]
	v_fma_f64 v[46:47], v[40:41], v[84:85], -v[46:47]
	v_mul_f64 v[40:41], v[40:41], v[86:87]
	v_fmac_f64_e32 v[40:41], v[42:43], v[84:85]
	s_waitcnt lgkmcnt(6)
	v_mul_f64 v[42:43], v[38:39], v[78:79]
	v_fma_f64 v[42:43], v[36:37], v[76:77], -v[42:43]
	v_mul_f64 v[36:37], v[36:37], v[78:79]
	v_fmac_f64_e32 v[36:37], v[38:39], v[76:77]
	v_mul_u32_u24_sdwa v38, v80, s0 dst_sel:DWORD dst_unused:UNUSED_PAD src0_sel:WORD_0 src1_sel:DWORD
	v_lshrrev_b32_e32 v166, 21, v38
	v_mul_lo_u16_e32 v38, 33, v166
	v_sub_u16_e32 v167, v80, v38
	v_lshlrev_b16_e32 v38, 5, v167
	v_mov_b32_e32 v39, v67
	v_lshl_add_u64 v[38:39], s[8:9], 0, v[38:39]
	v_accvgpr_write_b32 a128, v78
	v_accvgpr_write_b32 a127, v77
	;; [unrolled: 1-line block ×3, first 2 shown]
	global_load_dwordx4 v[76:79], v[38:39], off offset:368
	global_load_dwordx4 v[144:147], v[38:39], off offset:352
	v_accvgpr_write_b32 a133, v87
	v_accvgpr_write_b32 a132, v86
	;; [unrolled: 1-line block ×4, first 2 shown]
	s_waitcnt vmcnt(1)
	v_accvgpr_write_b32 a137, v79
	s_waitcnt vmcnt(0) lgkmcnt(4)
	v_mul_f64 v[38:39], v[34:35], v[146:147]
	v_fma_f64 v[38:39], v[32:33], v[144:145], -v[38:39]
	v_mul_f64 v[32:33], v[32:33], v[146:147]
	v_fmac_f64_e32 v[32:33], v[34:35], v[144:145]
	s_waitcnt lgkmcnt(3)
	v_mul_f64 v[34:35], v[30:31], v[78:79]
	v_fma_f64 v[34:35], v[28:29], v[76:77], -v[34:35]
	v_mul_f64 v[28:29], v[28:29], v[78:79]
	v_fmac_f64_e32 v[28:29], v[30:31], v[76:77]
	v_mul_u32_u24_sdwa v30, v69, s0 dst_sel:DWORD dst_unused:UNUSED_PAD src0_sel:WORD_0 src1_sel:DWORD
	v_lshrrev_b32_e32 v88, 21, v30
	v_mul_lo_u16_e32 v30, 33, v88
	v_sub_u16_e32 v89, v69, v30
	v_lshlrev_b16_e32 v30, 5, v89
	v_mov_b32_e32 v31, v67
	v_lshl_add_u64 v[30:31], s[8:9], 0, v[30:31]
	global_load_dwordx4 v[148:151], v[30:31], off offset:368
	global_load_dwordx4 v[152:155], v[30:31], off offset:352
	v_accvgpr_write_b32 a136, v78
	v_accvgpr_write_b32 a135, v77
	;; [unrolled: 1-line block ×3, first 2 shown]
	s_waitcnt lgkmcnt(0)
	s_barrier
	s_movk_i32 s0, 0x63
	s_waitcnt vmcnt(1)
	v_mul_f64 v[86:87], v[24:25], v[150:151]
	s_waitcnt vmcnt(0)
	v_mul_f64 v[30:31], v[158:159], v[154:155]
	v_fma_f64 v[76:77], v[156:157], v[152:153], -v[30:31]
	v_mul_f64 v[30:31], v[26:27], v[150:151]
	v_fmac_f64_e32 v[86:87], v[26:27], v[148:149]
	v_add_f64 v[26:27], v[60:61], v[70:71]
	v_fma_f64 v[84:85], v[24:25], v[148:149], -v[30:31]
	v_add_f64 v[24:25], v[20:21], v[60:61]
	v_fmac_f64_e32 v[20:21], -0.5, v[26:27]
	v_add_f64 v[26:27], v[62:63], -v[72:73]
	v_add_f64 v[30:31], v[62:63], v[72:73]
	v_mul_f64 v[78:79], v[156:157], v[154:155]
	v_fma_f64 v[156:157], s[10:11], v[26:27], v[20:21]
	v_fmac_f64_e32 v[20:21], s[12:13], v[26:27]
	v_add_f64 v[26:27], v[22:23], v[62:63]
	v_fmac_f64_e32 v[22:23], -0.5, v[30:31]
	v_add_f64 v[30:31], v[60:61], -v[70:71]
	v_fmac_f64_e32 v[78:79], v[158:159], v[152:153]
	v_fma_f64 v[158:159], s[12:13], v[30:31], v[22:23]
	v_fmac_f64_e32 v[22:23], s[10:11], v[30:31]
	v_add_f64 v[30:31], v[16:17], v[74:75]
	v_add_f64 v[60:61], v[30:31], v[58:59]
	;; [unrolled: 1-line block ×3, first 2 shown]
	v_fmac_f64_e32 v[16:17], -0.5, v[30:31]
	v_add_f64 v[30:31], v[56:57], -v[52:53]
	v_add_f64 v[24:25], v[24:25], v[70:71]
	v_fma_f64 v[70:71], s[10:11], v[30:31], v[16:17]
	v_fmac_f64_e32 v[16:17], s[12:13], v[30:31]
	v_add_f64 v[30:31], v[18:19], v[56:57]
	v_add_f64 v[62:63], v[30:31], v[52:53]
	;; [unrolled: 1-line block ×3, first 2 shown]
	v_fmac_f64_e32 v[18:19], -0.5, v[30:31]
	v_add_f64 v[30:31], v[74:75], -v[58:59]
	v_add_f64 v[26:27], v[26:27], v[72:73]
	v_fma_f64 v[72:73], s[12:13], v[30:31], v[18:19]
	v_fmac_f64_e32 v[18:19], s[10:11], v[30:31]
	v_add_f64 v[30:31], v[12:13], v[54:55]
	v_add_f64 v[56:57], v[30:31], v[50:51]
	v_add_f64 v[30:31], v[54:55], v[50:51]
	v_fmac_f64_e32 v[12:13], -0.5, v[30:31]
	v_add_f64 v[30:31], v[48:49], -v[44:45]
	v_fma_f64 v[52:53], s[10:11], v[30:31], v[12:13]
	v_fmac_f64_e32 v[12:13], s[12:13], v[30:31]
	v_add_f64 v[30:31], v[14:15], v[48:49]
	v_add_f64 v[58:59], v[30:31], v[44:45]
	v_add_f64 v[30:31], v[48:49], v[44:45]
	v_fmac_f64_e32 v[14:15], -0.5, v[30:31]
	v_add_f64 v[30:31], v[54:55], -v[50:51]
	;; [unrolled: 7-line block ×8, first 2 shown]
	v_fma_f64 v[170:171], s[12:13], v[28:29], v[2:3]
	v_fmac_f64_e32 v[2:3], s[10:11], v[28:29]
	v_mul_u32_u24_e32 v28, 0x63, v82
	v_add_lshl_u32 v116, v28, v83, 4
	ds_write_b128 v116, v[24:27]
	ds_write_b128 v116, v[156:159] offset:528
	ds_write_b128 v116, v[20:23] offset:1056
	v_mul_u32_u24_e32 v20, 0x63, v160
	v_add_lshl_u32 v117, v20, v161, 4
	ds_write_b128 v117, v[60:63]
	ds_write_b128 v117, v[70:73] offset:528
	ds_write_b128 v117, v[16:19] offset:1056
	v_mad_legacy_u16 v16, v162, s0, v163
	v_lshlrev_b32_e32 v119, 4, v16
	ds_write_b128 v119, v[56:59]
	ds_write_b128 v119, v[52:55] offset:528
	ds_write_b128 v119, v[12:15] offset:1056
	v_mad_legacy_u16 v12, v164, s0, v165
	v_lshlrev_b32_e32 v12, 4, v12
	;; [unrolled: 5-line block ×4, first 2 shown]
	v_lshlrev_b32_e32 v62, 5, v234
	v_accvgpr_write_b32 a139, v12
	v_accvgpr_write_b32 a140, v8
	ds_write_b128 v4, v[34:37]
	ds_write_b128 v4, v[168:171] offset:528
	v_accvgpr_write_b32 a141, v4
	ds_write_b128 v4, v[0:3] offset:1056
	s_waitcnt lgkmcnt(0)
	s_barrier
	ds_read_b128 v[20:23], v92
	ds_read_b128 v[52:55], v92 offset:9504
	ds_read_b128 v[56:59], v92 offset:19008
	;; [unrolled: 1-line block ×17, first 2 shown]
	global_load_dwordx4 v[156:159], v62, s[8:9] offset:1424
	global_load_dwordx4 v[160:163], v62, s[8:9] offset:1408
	s_mov_b32 s0, 0xa57f
	v_mul_u32_u24_sdwa v76, v68, s0 dst_sel:DWORD dst_unused:UNUSED_PAD src0_sel:WORD_0 src1_sel:DWORD
	v_lshrrev_b32_e32 v76, 22, v76
	v_mov_b32_e32 v63, v67
	v_mul_lo_u16_e32 v76, 0x63, v76
	v_lshl_add_u64 v[60:61], s[8:9], 0, v[62:63]
	v_sub_u16_e32 v82, v68, v76
	v_lshlrev_b16_e32 v76, 5, v82
	v_mov_b32_e32 v77, v67
	v_lshl_add_u64 v[76:77], s[8:9], 0, v[76:77]
	s_waitcnt vmcnt(1) lgkmcnt(14)
	v_mul_f64 v[74:75], v[56:57], v[158:159]
	s_waitcnt vmcnt(0)
	v_mul_f64 v[62:63], v[54:55], v[162:163]
	v_fma_f64 v[62:63], v[52:53], v[160:161], -v[62:63]
	v_mul_f64 v[70:71], v[52:53], v[162:163]
	v_mul_f64 v[52:53], v[58:59], v[158:159]
	v_fmac_f64_e32 v[70:71], v[54:55], v[160:161]
	v_fma_f64 v[72:73], v[56:57], v[156:157], -v[52:53]
	v_fmac_f64_e32 v[74:75], v[58:59], v[156:157]
	s_waitcnt lgkmcnt(13)
	v_mul_f64 v[52:53], v[166:167], v[162:163]
	v_mul_f64 v[54:55], v[164:165], v[162:163]
	s_waitcnt lgkmcnt(12)
	v_mul_f64 v[56:57], v[170:171], v[158:159]
	v_mul_f64 v[58:59], v[168:169], v[158:159]
	v_fma_f64 v[52:53], v[164:165], v[160:161], -v[52:53]
	v_fmac_f64_e32 v[54:55], v[166:167], v[160:161]
	v_fma_f64 v[56:57], v[168:169], v[156:157], -v[56:57]
	v_fmac_f64_e32 v[58:59], v[170:171], v[156:157]
	global_load_dwordx4 v[164:167], v[76:77], off offset:1424
	global_load_dwordx4 v[168:171], v[76:77], off offset:1408
	s_waitcnt vmcnt(0) lgkmcnt(10)
	v_mul_f64 v[76:77], v[50:51], v[170:171]
	v_fma_f64 v[200:201], v[48:49], v[168:169], -v[76:77]
	v_mul_f64 v[48:49], v[48:49], v[170:171]
	v_fmac_f64_e32 v[48:49], v[50:51], v[168:169]
	s_waitcnt lgkmcnt(9)
	v_mul_f64 v[50:51], v[46:47], v[166:167]
	v_fma_f64 v[50:51], v[44:45], v[164:165], -v[50:51]
	v_mul_f64 v[44:45], v[44:45], v[166:167]
	v_fmac_f64_e32 v[44:45], v[46:47], v[164:165]
	v_mul_u32_u24_sdwa v46, v81, s0 dst_sel:DWORD dst_unused:UNUSED_PAD src0_sel:WORD_0 src1_sel:DWORD
	v_lshrrev_b32_e32 v46, 22, v46
	v_mul_lo_u16_e32 v46, 0x63, v46
	v_sub_u16_e32 v81, v81, v46
	v_lshlrev_b16_e32 v46, 5, v81
	v_mov_b32_e32 v47, v67
	v_lshl_add_u64 v[46:47], s[8:9], 0, v[46:47]
	global_load_dwordx4 v[172:175], v[46:47], off offset:1424
	global_load_dwordx4 v[176:179], v[46:47], off offset:1408
	s_waitcnt vmcnt(0) lgkmcnt(7)
	v_mul_f64 v[46:47], v[42:43], v[178:179]
	v_fma_f64 v[46:47], v[40:41], v[176:177], -v[46:47]
	v_mul_f64 v[40:41], v[40:41], v[178:179]
	v_fmac_f64_e32 v[40:41], v[42:43], v[176:177]
	s_waitcnt lgkmcnt(6)
	v_mul_f64 v[42:43], v[38:39], v[174:175]
	v_fma_f64 v[42:43], v[36:37], v[172:173], -v[42:43]
	v_mul_f64 v[36:37], v[36:37], v[174:175]
	v_fmac_f64_e32 v[36:37], v[38:39], v[172:173]
	v_mul_u32_u24_sdwa v38, v80, s0 dst_sel:DWORD dst_unused:UNUSED_PAD src0_sel:WORD_0 src1_sel:DWORD
	v_lshrrev_b32_e32 v38, 22, v38
	v_mul_lo_u16_e32 v38, 0x63, v38
	v_sub_u16_e32 v80, v80, v38
	v_lshlrev_b16_e32 v38, 5, v80
	v_mov_b32_e32 v39, v67
	v_lshl_add_u64 v[38:39], s[8:9], 0, v[38:39]
	;; [unrolled: 19-line block ×3, first 2 shown]
	global_load_dwordx4 v[188:191], v[30:31], off offset:1424
	global_load_dwordx4 v[192:195], v[30:31], off offset:1408
	s_waitcnt lgkmcnt(0)
	s_barrier
	s_waitcnt vmcnt(1)
	v_mul_f64 v[86:87], v[24:25], v[190:191]
	s_waitcnt vmcnt(0)
	v_mul_f64 v[30:31], v[198:199], v[194:195]
	v_fma_f64 v[76:77], v[196:197], v[192:193], -v[30:31]
	v_mul_f64 v[30:31], v[26:27], v[190:191]
	v_fmac_f64_e32 v[86:87], v[26:27], v[188:189]
	v_add_f64 v[26:27], v[62:63], v[72:73]
	v_fma_f64 v[84:85], v[24:25], v[188:189], -v[30:31]
	v_add_f64 v[24:25], v[20:21], v[62:63]
	v_fmac_f64_e32 v[20:21], -0.5, v[26:27]
	v_add_f64 v[26:27], v[70:71], -v[74:75]
	v_add_f64 v[30:31], v[70:71], v[74:75]
	v_mul_f64 v[78:79], v[196:197], v[194:195]
	v_fma_f64 v[196:197], s[10:11], v[26:27], v[20:21]
	v_fmac_f64_e32 v[20:21], s[12:13], v[26:27]
	v_add_f64 v[26:27], v[22:23], v[70:71]
	v_fmac_f64_e32 v[22:23], -0.5, v[30:31]
	v_add_f64 v[30:31], v[62:63], -v[72:73]
	v_fmac_f64_e32 v[78:79], v[198:199], v[192:193]
	v_fma_f64 v[198:199], s[12:13], v[30:31], v[22:23]
	v_fmac_f64_e32 v[22:23], s[10:11], v[30:31]
	v_add_f64 v[30:31], v[16:17], v[52:53]
	v_add_f64 v[70:71], v[30:31], v[56:57]
	;; [unrolled: 1-line block ×3, first 2 shown]
	v_fmac_f64_e32 v[16:17], -0.5, v[30:31]
	v_add_f64 v[30:31], v[54:55], -v[58:59]
	v_fma_f64 v[206:207], s[10:11], v[30:31], v[16:17]
	v_fmac_f64_e32 v[16:17], s[12:13], v[30:31]
	v_add_f64 v[30:31], v[18:19], v[54:55]
	v_add_f64 v[24:25], v[24:25], v[72:73]
	;; [unrolled: 1-line block ×4, first 2 shown]
	v_fmac_f64_e32 v[18:19], -0.5, v[30:31]
	v_add_f64 v[30:31], v[52:53], -v[56:57]
	v_fma_f64 v[208:209], s[12:13], v[30:31], v[18:19]
	v_fmac_f64_e32 v[18:19], s[10:11], v[30:31]
	v_add_f64 v[30:31], v[12:13], v[200:201]
	v_add_f64 v[52:53], v[30:31], v[50:51]
	v_add_f64 v[30:31], v[200:201], v[50:51]
	v_fmac_f64_e32 v[12:13], -0.5, v[30:31]
	v_add_f64 v[30:31], v[48:49], -v[44:45]
	v_fma_f64 v[56:57], s[10:11], v[30:31], v[12:13]
	v_fmac_f64_e32 v[12:13], s[12:13], v[30:31]
	v_add_f64 v[30:31], v[14:15], v[48:49]
	v_add_f64 v[54:55], v[30:31], v[44:45]
	v_add_f64 v[30:31], v[48:49], v[44:45]
	;; [unrolled: 7-line block ×7, first 2 shown]
	v_add_f64 v[26:27], v[26:27], v[74:75]
	v_fmac_f64_e32 v[0:1], -0.5, v[28:29]
	v_add_f64 v[28:29], v[78:79], -v[86:87]
	v_fma_f64 v[200:201], s[10:11], v[28:29], v[0:1]
	v_fmac_f64_e32 v[0:1], s[12:13], v[28:29]
	v_add_f64 v[28:29], v[2:3], v[78:79]
	ds_write_b128 v92, v[24:27]
	ds_write_b128 v92, v[196:199] offset:1584
	ds_write_b128 v92, v[20:23] offset:3168
	;; [unrolled: 1-line block ×5, first 2 shown]
	v_lshlrev_b32_e32 v16, 4, v82
	v_lshl_add_u64 v[62:63], v[60:61], 0, s[14:15]
	v_add_co_u32_e64 v60, s[0:1], s16, v60
	v_lshlrev_b32_e32 v74, 5, v204
	v_mov_b32_e32 v75, v67
	v_add_f64 v[36:37], v[28:29], v[86:87]
	v_add_f64 v[28:29], v[78:79], v[86:87]
	ds_write_b128 v16, v[52:55] offset:9504
	ds_write_b128 v16, v[56:59] offset:11088
	;; [unrolled: 1-line block ×3, first 2 shown]
	v_lshlrev_b32_e32 v12, 4, v81
	v_addc_co_u32_e64 v61, s[0:1], 0, v61, s[0:1]
	v_lshl_add_u64 v[74:75], s[8:9], 0, v[74:75]
	v_fmac_f64_e32 v[2:3], -0.5, v[28:29]
	v_add_f64 v[28:29], v[76:77], -v[84:85]
	ds_write_b128 v12, v[48:51] offset:14256
	ds_write_b128 v12, v[44:47] offset:15840
	ds_write_b128 v12, v[8:11] offset:17424
	v_lshlrev_b32_e32 v8, 4, v80
	v_lshl_add_u64 v[76:77], v[74:75], 0, s[14:15]
	v_add_co_u32_e64 v74, s[0:1], s16, v74
	v_fma_f64 v[202:203], s[12:13], v[28:29], v[2:3]
	v_fmac_f64_e32 v[2:3], s[10:11], v[28:29]
	ds_write_b128 v8, v[40:43] offset:19008
	ds_write_b128 v8, v[30:33] offset:20592
	;; [unrolled: 1-line block ×3, first 2 shown]
	v_lshlrev_b32_e32 v4, 4, v69
	v_addc_co_u32_e64 v75, s[0:1], 0, v75, s[0:1]
	v_accvgpr_write_b32 a142, v16
	v_accvgpr_write_b32 a143, v12
	;; [unrolled: 1-line block ×3, first 2 shown]
	ds_write_b128 v4, v[34:37] offset:23760
	ds_write_b128 v4, v[200:203] offset:25344
	v_accvgpr_write_b32 a145, v4
	ds_write_b128 v4, v[0:3] offset:26928
	s_waitcnt lgkmcnt(0)
	s_barrier
	ds_read_b128 v[20:23], v92
	ds_read_b128 v[70:73], v92 offset:9504
	ds_read_b128 v[80:83], v92 offset:19008
	;; [unrolled: 1-line block ×17, first 2 shown]
	global_load_dwordx4 v[196:199], v[60:61], off offset:480
	global_load_dwordx4 v[200:203], v[62:63], off offset:16
	global_load_dwordx4 v[204:207], v[74:75], off offset:480
	global_load_dwordx4 v[208:211], v[76:77], off offset:16
	s_waitcnt vmcnt(3) lgkmcnt(14)
	v_mul_f64 v[60:61], v[72:73], v[198:199]
	s_waitcnt vmcnt(1) lgkmcnt(13)
	v_mul_f64 v[74:75], v[58:59], v[206:207]
	v_fma_f64 v[74:75], v[56:57], v[204:205], -v[74:75]
	v_mul_f64 v[56:57], v[56:57], v[206:207]
	v_fmac_f64_e32 v[56:57], v[58:59], v[204:205]
	s_waitcnt vmcnt(0) lgkmcnt(12)
	v_mul_f64 v[58:59], v[54:55], v[210:211]
	v_fma_f64 v[58:59], v[52:53], v[208:209], -v[58:59]
	v_mul_f64 v[52:53], v[52:53], v[210:211]
	v_fmac_f64_e32 v[52:53], v[54:55], v[208:209]
	v_lshlrev_b32_e32 v54, 5, v68
	v_mov_b32_e32 v55, v67
	v_lshl_add_u64 v[54:55], s[8:9], 0, v[54:55]
	v_lshl_add_u64 v[68:69], v[54:55], 0, s[14:15]
	v_add_co_u32_e64 v54, s[0:1], s16, v54
	v_mul_f64 v[62:63], v[70:71], v[198:199]
	s_nop 0
	v_addc_co_u32_e64 v55, s[0:1], 0, v55, s[0:1]
	global_load_dwordx4 v[212:215], v[54:55], off offset:480
	global_load_dwordx4 v[216:219], v[68:69], off offset:16
	v_fma_f64 v[60:61], v[70:71], v[196:197], -v[60:61]
	v_fmac_f64_e32 v[62:63], v[72:73], v[196:197]
	v_mul_f64 v[70:71], v[82:83], v[202:203]
	v_mul_f64 v[72:73], v[80:81], v[202:203]
	s_waitcnt lgkmcnt(3)
	v_mul_f64 v[78:79], v[32:33], v[210:211]
	v_fma_f64 v[70:71], v[80:81], v[200:201], -v[70:71]
	v_fmac_f64_e32 v[72:73], v[82:83], v[200:201]
	v_fmac_f64_e32 v[78:79], v[34:35], v[208:209]
	s_waitcnt lgkmcnt(0)
	s_barrier
	s_waitcnt vmcnt(1)
	v_mul_f64 v[82:83], v[28:29], v[214:215]
	s_waitcnt vmcnt(0)
	v_mul_f64 v[76:77], v[50:51], v[218:219]
	v_fma_f64 v[76:77], v[48:49], v[216:217], -v[76:77]
	v_mul_f64 v[48:49], v[48:49], v[218:219]
	v_fmac_f64_e32 v[48:49], v[50:51], v[216:217]
	v_mul_f64 v[50:51], v[46:47], v[198:199]
	v_fma_f64 v[50:51], v[44:45], v[196:197], -v[50:51]
	v_mul_f64 v[44:45], v[44:45], v[198:199]
	v_fmac_f64_e32 v[44:45], v[46:47], v[196:197]
	;; [unrolled: 4-line block ×4, first 2 shown]
	v_mul_f64 v[38:39], v[34:35], v[210:211]
	v_fma_f64 v[38:39], v[32:33], v[208:209], -v[38:39]
	v_mul_f64 v[32:33], v[30:31], v[214:215]
	v_fma_f64 v[80:81], v[28:29], v[212:213], -v[32:33]
	;; [unrolled: 2-line block ×3, first 2 shown]
	v_mul_f64 v[86:87], v[24:25], v[218:219]
	v_add_f64 v[24:25], v[20:21], v[60:61]
	v_add_f64 v[32:33], v[24:25], v[70:71]
	v_add_f64 v[24:25], v[60:61], v[70:71]
	v_fmac_f64_e32 v[20:21], -0.5, v[24:25]
	v_add_f64 v[24:25], v[62:63], -v[72:73]
	v_fma_f64 v[28:29], s[10:11], v[24:25], v[20:21]
	v_fmac_f64_e32 v[20:21], s[12:13], v[24:25]
	v_add_f64 v[24:25], v[22:23], v[62:63]
	v_add_f64 v[34:35], v[24:25], v[72:73]
	v_add_f64 v[24:25], v[62:63], v[72:73]
	v_fmac_f64_e32 v[22:23], -0.5, v[24:25]
	v_add_f64 v[24:25], v[60:61], -v[70:71]
	v_fmac_f64_e32 v[82:83], v[30:31], v[212:213]
	v_fma_f64 v[30:31], s[12:13], v[24:25], v[22:23]
	v_fmac_f64_e32 v[22:23], s[10:11], v[24:25]
	v_add_f64 v[24:25], v[16:17], v[74:75]
	v_add_f64 v[252:253], v[24:25], v[58:59]
	v_add_f64 v[24:25], v[74:75], v[58:59]
	v_fmac_f64_e32 v[16:17], -0.5, v[24:25]
	v_add_f64 v[24:25], v[56:57], -v[52:53]
	v_fma_f64 v[248:249], s[10:11], v[24:25], v[16:17]
	v_fmac_f64_e32 v[16:17], s[12:13], v[24:25]
	v_add_f64 v[24:25], v[18:19], v[56:57]
	v_mul_f64 v[54:55], v[222:223], v[214:215]
	v_add_f64 v[254:255], v[24:25], v[52:53]
	v_add_f64 v[24:25], v[56:57], v[52:53]
	v_fma_f64 v[54:55], v[220:221], v[212:213], -v[54:55]
	v_fmac_f64_e32 v[18:19], -0.5, v[24:25]
	v_add_f64 v[24:25], v[74:75], -v[58:59]
	v_mul_f64 v[68:69], v[220:221], v[214:215]
	v_fma_f64 v[250:251], s[12:13], v[24:25], v[18:19]
	v_fmac_f64_e32 v[18:19], s[10:11], v[24:25]
	v_add_f64 v[24:25], v[12:13], v[54:55]
	v_fmac_f64_e32 v[68:69], v[222:223], v[212:213]
	v_add_f64 v[244:245], v[24:25], v[76:77]
	v_add_f64 v[24:25], v[54:55], v[76:77]
	v_fmac_f64_e32 v[12:13], -0.5, v[24:25]
	v_add_f64 v[24:25], v[68:69], -v[48:49]
	v_fma_f64 v[240:241], s[10:11], v[24:25], v[12:13]
	v_fmac_f64_e32 v[12:13], s[12:13], v[24:25]
	v_add_f64 v[24:25], v[14:15], v[68:69]
	v_add_f64 v[246:247], v[24:25], v[48:49]
	v_add_f64 v[24:25], v[68:69], v[48:49]
	v_fmac_f64_e32 v[14:15], -0.5, v[24:25]
	v_add_f64 v[24:25], v[54:55], -v[76:77]
	v_fma_f64 v[242:243], s[12:13], v[24:25], v[14:15]
	v_fmac_f64_e32 v[14:15], s[10:11], v[24:25]
	v_add_f64 v[24:25], v[8:9], v[50:51]
	;; [unrolled: 7-line block ×6, first 2 shown]
	v_fmac_f64_e32 v[86:87], v[26:27], v[216:217]
	v_add_f64 v[220:221], v[24:25], v[84:85]
	v_add_f64 v[24:25], v[80:81], v[84:85]
	v_fmac_f64_e32 v[0:1], -0.5, v[24:25]
	v_add_f64 v[26:27], v[82:83], -v[86:87]
	v_fma_f64 v[24:25], s[10:11], v[26:27], v[0:1]
	v_fmac_f64_e32 v[0:1], s[12:13], v[26:27]
	v_add_f64 v[26:27], v[2:3], v[82:83]
	v_add_f64 v[222:223], v[26:27], v[86:87]
	;; [unrolled: 1-line block ×3, first 2 shown]
	v_fmac_f64_e32 v[2:3], -0.5, v[26:27]
	v_add_f64 v[36:37], v[80:81], -v[84:85]
	v_fma_f64 v[26:27], s[12:13], v[36:37], v[2:3]
	v_lshl_add_u64 v[76:77], s[8:9], 0, v[66:67]
	s_movk_i32 s13, 0x3000
	v_add_co_u32_e64 v74, s[0:1], s13, v76
	s_movk_i32 s12, 0x4000
	s_nop 0
	v_addc_co_u32_e64 v75, s[0:1], 0, v77, s[0:1]
	v_add_co_u32_e64 v78, s[0:1], s12, v76
	v_fmac_f64_e32 v[2:3], s[10:11], v[36:37]
	s_nop 0
	v_addc_co_u32_e64 v79, s[0:1], 0, v77, s[0:1]
	ds_write_b128 v92, v[32:35]
	ds_write_b128 v92, v[28:31] offset:4752
	ds_write_b128 v92, v[20:23] offset:9504
	;; [unrolled: 1-line block ×17, first 2 shown]
	s_waitcnt lgkmcnt(0)
	s_barrier
	ds_read_b128 v[32:35], v92
	ds_read_b128 v[70:73], v92 offset:14256
	ds_read_b128 v[28:31], v92 offset:1584
	;; [unrolled: 1-line block ×17, first 2 shown]
	global_load_dwordx4 v[228:231], v[78:79], off offset:864
	global_load_dwordx4 v[232:235], v[78:79], off offset:2448
	s_movk_i32 s10, 0x5000
	global_load_dwordx4 v[236:239], v[78:79], off offset:4032
	v_add_co_u32_e64 v78, s[0:1], s10, v76
	global_load_dwordx4 v[220:223], v[74:75], off offset:1792
	global_load_dwordx4 v[224:227], v[74:75], off offset:3376
	v_addc_co_u32_e64 v79, s[0:1], 0, v77, s[0:1]
	global_load_dwordx4 v[240:243], v[78:79], off offset:1520
	global_load_dwordx4 v[244:247], v[78:79], off offset:3104
	s_movk_i32 s11, 0x6000
	s_waitcnt vmcnt(6) lgkmcnt(12)
	v_mul_f64 v[74:75], v[62:63], v[230:231]
	v_fma_f64 v[74:75], v[60:61], v[228:229], -v[74:75]
	v_mul_f64 v[60:61], v[60:61], v[230:231]
	v_fmac_f64_e32 v[60:61], v[62:63], v[228:229]
	s_waitcnt vmcnt(5) lgkmcnt(10)
	v_mul_f64 v[62:63], v[58:59], v[234:235]
	v_fma_f64 v[62:63], v[56:57], v[232:233], -v[62:63]
	v_mul_f64 v[56:57], v[56:57], v[234:235]
	v_fmac_f64_e32 v[56:57], v[58:59], v[232:233]
	;; [unrolled: 5-line block ×5, first 2 shown]
	v_add_co_u32_e64 v46, s[0:1], s11, v76
	v_mul_f64 v[66:67], v[72:73], v[222:223]
	s_nop 0
	v_addc_co_u32_e64 v47, s[0:1], 0, v77, s[0:1]
	global_load_dwordx4 v[248:251], v[46:47], off offset:592
	global_load_dwordx4 v[252:255], v[46:47], off offset:2176
	v_fma_f64 v[68:69], v[70:71], v[220:221], -v[66:67]
	v_mul_f64 v[66:67], v[70:71], v[222:223]
	v_mul_f64 v[70:71], v[82:83], v[226:227]
	v_fmac_f64_e32 v[66:67], v[72:73], v[220:221]
	v_fma_f64 v[72:73], v[80:81], v[224:225], -v[70:71]
	v_mul_f64 v[70:71], v[80:81], v[226:227]
	v_fmac_f64_e32 v[70:71], v[82:83], v[224:225]
	s_mov_b64 s[0:1], 0x6f60
	s_waitcnt vmcnt(1) lgkmcnt(2)
	v_mul_f64 v[76:77], v[42:43], v[250:251]
	v_fma_f64 v[76:77], v[40:41], v[248:249], -v[76:77]
	v_mul_f64 v[78:79], v[40:41], v[250:251]
	s_waitcnt vmcnt(0) lgkmcnt(0)
	v_mul_f64 v[40:41], v[38:39], v[254:255]
	v_fma_f64 v[88:89], v[36:37], v[252:253], -v[40:41]
	v_mul_f64 v[90:91], v[36:37], v[254:255]
	v_add_f64 v[36:37], v[32:33], -v[68:69]
	v_add_f64 v[68:69], v[26:27], -v[60:61]
	;; [unrolled: 1-line block ×6, first 2 shown]
	v_fmac_f64_e32 v[78:79], v[42:43], v[248:249]
	v_fmac_f64_e32 v[90:91], v[38:39], v[252:253]
	v_add_f64 v[38:39], v[34:35], -v[66:67]
	v_add_f64 v[40:41], v[28:29], -v[72:73]
	;; [unrolled: 1-line block ×3, first 2 shown]
	v_fma_f64 v[84:85], v[0:1], 2.0, -v[56:57]
	v_fma_f64 v[86:87], v[2:3], 2.0, -v[58:59]
	v_add_f64 v[0:1], v[8:9], -v[54:55]
	v_add_f64 v[2:3], v[10:11], -v[48:49]
	v_fma_f64 v[32:33], v[32:33], 2.0, -v[36:37]
	v_fma_f64 v[34:35], v[34:35], 2.0, -v[38:39]
	v_add_f64 v[42:43], v[30:31], -v[70:71]
	v_fma_f64 v[28:29], v[28:29], 2.0, -v[40:41]
	v_fma_f64 v[70:71], v[24:25], 2.0, -v[66:67]
	;; [unrolled: 1-line block ×7, first 2 shown]
	v_add_f64 v[8:9], v[4:5], -v[50:51]
	v_add_f64 v[10:11], v[6:7], -v[44:45]
	;; [unrolled: 1-line block ×6, first 2 shown]
	v_fma_f64 v[30:31], v[30:31], 2.0, -v[42:43]
	v_fma_f64 v[4:5], v[4:5], 2.0, -v[8:9]
	;; [unrolled: 1-line block ×7, first 2 shown]
	ds_write_b128 v92, v[32:35]
	ds_write_b128 v92, v[36:39] offset:14256
	ds_write_b128 v92, v[28:31] offset:1584
	ds_write_b128 v92, v[40:43] offset:15840
	ds_write_b128 v92, v[70:73] offset:3168
	ds_write_b128 v92, v[66:69] offset:17424
	ds_write_b128 v92, v[80:83] offset:4752
	ds_write_b128 v92, v[60:63] offset:19008
	ds_write_b128 v92, v[84:87] offset:6336
	ds_write_b128 v92, v[56:59] offset:20592
	ds_write_b128 v92, v[46:49] offset:7920
	ds_write_b128 v92, v[0:3] offset:22176
	ds_write_b128 v92, v[4:7] offset:9504
	ds_write_b128 v92, v[8:11] offset:23760
	ds_write_b128 v92, v[12:15] offset:11088
	ds_write_b128 v92, v[16:19] offset:25344
	ds_write_b128 v92, v[20:23] offset:12672
	ds_write_b128 v92, v[24:27] offset:26928
	v_lshl_add_u64 v[28:29], v[64:65], 0, s[0:1]
	v_add_co_u32_e64 v34, s[0:1], s11, v64
	s_waitcnt lgkmcnt(0)
	s_nop 0
	v_addc_co_u32_e64 v35, s[0:1], 0, v65, s[0:1]
	s_barrier
	global_load_dwordx4 v[34:37], v[34:35], off offset:3936
	ds_read_b128 v[30:33], v92
	s_mov_b32 s0, 0x8000
	v_add_co_u32_e64 v42, s[0:1], s0, v64
	s_waitcnt vmcnt(0) lgkmcnt(0)
	v_mul_f64 v[38:39], v[32:33], v[36:37]
	v_mul_f64 v[40:41], v[30:31], v[36:37]
	v_fma_f64 v[38:39], v[30:31], v[34:35], -v[38:39]
	v_fmac_f64_e32 v[40:41], v[32:33], v[34:35]
	global_load_dwordx4 v[34:37], v[28:29], off offset:2592
	ds_read_b128 v[30:33], v92 offset:2592
	ds_write_b128 v92, v[38:41]
	v_addc_co_u32_e64 v43, s[0:1], 0, v65, s[0:1]
	s_mov_b32 s0, 0x9000
	s_waitcnt vmcnt(0) lgkmcnt(1)
	v_mul_f64 v[38:39], v[32:33], v[36:37]
	v_mul_f64 v[40:41], v[30:31], v[36:37]
	v_fma_f64 v[38:39], v[30:31], v[34:35], -v[38:39]
	v_fmac_f64_e32 v[40:41], v[32:33], v[34:35]
	global_load_dwordx4 v[34:37], v[42:43], off offset:928
	ds_read_b128 v[30:33], v92 offset:5184
	ds_write_b128 v92, v[38:41] offset:2592
	s_waitcnt vmcnt(0) lgkmcnt(1)
	v_mul_f64 v[38:39], v[32:33], v[36:37]
	v_mul_f64 v[40:41], v[30:31], v[36:37]
	v_fma_f64 v[38:39], v[30:31], v[34:35], -v[38:39]
	v_fmac_f64_e32 v[40:41], v[32:33], v[34:35]
	global_load_dwordx4 v[34:37], v[42:43], off offset:3520
	ds_read_b128 v[30:33], v92 offset:7776
	ds_write_b128 v92, v[38:41] offset:5184
	s_waitcnt vmcnt(0) lgkmcnt(1)
	v_mul_f64 v[38:39], v[32:33], v[36:37]
	v_mul_f64 v[40:41], v[30:31], v[36:37]
	v_fma_f64 v[38:39], v[30:31], v[34:35], -v[38:39]
	v_fmac_f64_e32 v[40:41], v[32:33], v[34:35]
	v_add_co_u32_e64 v34, s[0:1], s0, v64
	ds_read_b128 v[30:33], v92 offset:10368
	s_nop 0
	v_addc_co_u32_e64 v35, s[0:1], 0, v65, s[0:1]
	global_load_dwordx4 v[34:37], v[34:35], off offset:2016
	s_mov_b32 s0, 0xa000
	v_add_co_u32_e64 v42, s[0:1], s0, v64
	ds_write_b128 v92, v[38:41] offset:7776
	s_nop 0
	v_addc_co_u32_e64 v43, s[0:1], 0, v65, s[0:1]
	s_mov_b32 s0, 0xb000
	s_waitcnt vmcnt(0) lgkmcnt(1)
	v_mul_f64 v[38:39], v[32:33], v[36:37]
	v_mul_f64 v[40:41], v[30:31], v[36:37]
	v_fma_f64 v[38:39], v[30:31], v[34:35], -v[38:39]
	v_fmac_f64_e32 v[40:41], v[32:33], v[34:35]
	global_load_dwordx4 v[34:37], v[42:43], off offset:512
	ds_read_b128 v[30:33], v92 offset:12960
	ds_write_b128 v92, v[38:41] offset:10368
	s_waitcnt vmcnt(0) lgkmcnt(1)
	v_mul_f64 v[38:39], v[32:33], v[36:37]
	v_mul_f64 v[40:41], v[30:31], v[36:37]
	v_fma_f64 v[38:39], v[30:31], v[34:35], -v[38:39]
	v_fmac_f64_e32 v[40:41], v[32:33], v[34:35]
	global_load_dwordx4 v[34:37], v[42:43], off offset:3104
	ds_read_b128 v[30:33], v92 offset:15552
	ds_write_b128 v92, v[38:41] offset:12960
	s_waitcnt vmcnt(0) lgkmcnt(1)
	v_mul_f64 v[38:39], v[32:33], v[36:37]
	v_mul_f64 v[40:41], v[30:31], v[36:37]
	v_fma_f64 v[38:39], v[30:31], v[34:35], -v[38:39]
	v_fmac_f64_e32 v[40:41], v[32:33], v[34:35]
	v_add_co_u32_e64 v34, s[0:1], s0, v64
	ds_read_b128 v[30:33], v92 offset:18144
	s_nop 0
	v_addc_co_u32_e64 v35, s[0:1], 0, v65, s[0:1]
	global_load_dwordx4 v[34:37], v[34:35], off offset:1600
	s_mov_b32 s0, 0xc000
	v_add_co_u32_e64 v42, s[0:1], s0, v64
	ds_write_b128 v92, v[38:41] offset:15552
	s_nop 0
	v_addc_co_u32_e64 v43, s[0:1], 0, v65, s[0:1]
	s_mov_b32 s0, 0xd000
	s_waitcnt vmcnt(0) lgkmcnt(1)
	v_mul_f64 v[38:39], v[32:33], v[36:37]
	v_mul_f64 v[40:41], v[30:31], v[36:37]
	v_fma_f64 v[38:39], v[30:31], v[34:35], -v[38:39]
	v_fmac_f64_e32 v[40:41], v[32:33], v[34:35]
	global_load_dwordx4 v[34:37], v[42:43], off offset:96
	ds_read_b128 v[30:33], v92 offset:20736
	ds_write_b128 v92, v[38:41] offset:18144
	s_waitcnt vmcnt(0) lgkmcnt(1)
	v_mul_f64 v[38:39], v[32:33], v[36:37]
	v_mul_f64 v[40:41], v[30:31], v[36:37]
	v_fma_f64 v[38:39], v[30:31], v[34:35], -v[38:39]
	v_fmac_f64_e32 v[40:41], v[32:33], v[34:35]
	global_load_dwordx4 v[34:37], v[42:43], off offset:2688
	ds_read_b128 v[30:33], v92 offset:23328
	ds_write_b128 v92, v[38:41] offset:20736
	s_waitcnt vmcnt(0) lgkmcnt(1)
	v_mul_f64 v[38:39], v[32:33], v[36:37]
	v_mul_f64 v[40:41], v[30:31], v[36:37]
	v_fma_f64 v[38:39], v[30:31], v[34:35], -v[38:39]
	v_fmac_f64_e32 v[40:41], v[32:33], v[34:35]
	v_add_co_u32_e64 v34, s[0:1], s0, v64
	ds_read_b128 v[30:33], v92 offset:25920
	s_nop 0
	v_addc_co_u32_e64 v35, s[0:1], 0, v65, s[0:1]
	global_load_dwordx4 v[34:37], v[34:35], off offset:1184
	ds_write_b128 v92, v[38:41] offset:23328
	s_waitcnt vmcnt(0) lgkmcnt(1)
	v_mul_f64 v[38:39], v[32:33], v[36:37]
	v_mul_f64 v[40:41], v[30:31], v[36:37]
	v_fma_f64 v[38:39], v[30:31], v[34:35], -v[38:39]
	v_fmac_f64_e32 v[40:41], v[32:33], v[34:35]
	ds_write_b128 v92, v[38:41] offset:25920
	s_and_saveexec_b64 s[8:9], vcc
	s_cbranch_execz .LBB0_9
; %bb.8:
	global_load_dwordx4 v[34:37], v[28:29], off offset:1584
	ds_read_b128 v[30:33], v92 offset:1584
	v_add_co_u32_e64 v42, s[0:1], s16, v28
	s_waitcnt vmcnt(0) lgkmcnt(0)
	v_mul_f64 v[38:39], v[32:33], v[36:37]
	v_mul_f64 v[40:41], v[30:31], v[36:37]
	v_addc_co_u32_e64 v43, s[0:1], 0, v29, s[0:1]
	v_fma_f64 v[38:39], v[30:31], v[34:35], -v[38:39]
	v_fmac_f64_e32 v[40:41], v[32:33], v[34:35]
	global_load_dwordx4 v[34:37], v[42:43], off offset:80
	ds_read_b128 v[30:33], v92 offset:4176
	ds_write_b128 v92, v[38:41] offset:1584
	s_movk_i32 s0, 0x2000
	s_waitcnt vmcnt(0) lgkmcnt(1)
	v_mul_f64 v[38:39], v[32:33], v[36:37]
	v_mul_f64 v[40:41], v[30:31], v[36:37]
	v_fma_f64 v[38:39], v[30:31], v[34:35], -v[38:39]
	v_fmac_f64_e32 v[40:41], v[32:33], v[34:35]
	global_load_dwordx4 v[34:37], v[42:43], off offset:2672
	ds_read_b128 v[30:33], v92 offset:6768
	v_add_co_u32_e64 v42, s[0:1], s0, v28
	ds_write_b128 v92, v[38:41] offset:4176
	s_nop 0
	v_addc_co_u32_e64 v43, s[0:1], 0, v29, s[0:1]
	s_waitcnt vmcnt(0) lgkmcnt(1)
	v_mul_f64 v[38:39], v[32:33], v[36:37]
	v_mul_f64 v[40:41], v[30:31], v[36:37]
	v_fma_f64 v[38:39], v[30:31], v[34:35], -v[38:39]
	v_fmac_f64_e32 v[40:41], v[32:33], v[34:35]
	global_load_dwordx4 v[34:37], v[42:43], off offset:1168
	ds_read_b128 v[30:33], v92 offset:9360
	ds_write_b128 v92, v[38:41] offset:6768
	s_waitcnt vmcnt(0) lgkmcnt(1)
	v_mul_f64 v[38:39], v[32:33], v[36:37]
	v_mul_f64 v[40:41], v[30:31], v[36:37]
	v_fma_f64 v[38:39], v[30:31], v[34:35], -v[38:39]
	v_fmac_f64_e32 v[40:41], v[32:33], v[34:35]
	global_load_dwordx4 v[34:37], v[42:43], off offset:3760
	ds_read_b128 v[30:33], v92 offset:11952
	ds_write_b128 v92, v[38:41] offset:9360
	s_waitcnt vmcnt(0) lgkmcnt(1)
	v_mul_f64 v[38:39], v[32:33], v[36:37]
	v_mul_f64 v[40:41], v[30:31], v[36:37]
	v_fma_f64 v[38:39], v[30:31], v[34:35], -v[38:39]
	v_fmac_f64_e32 v[40:41], v[32:33], v[34:35]
	v_add_co_u32_e64 v34, s[0:1], s13, v28
	ds_read_b128 v[30:33], v92 offset:14544
	s_nop 0
	v_addc_co_u32_e64 v35, s[0:1], 0, v29, s[0:1]
	global_load_dwordx4 v[34:37], v[34:35], off offset:2256
	v_add_co_u32_e64 v42, s[0:1], s12, v28
	ds_write_b128 v92, v[38:41] offset:11952
	s_nop 0
	v_addc_co_u32_e64 v43, s[0:1], 0, v29, s[0:1]
	s_waitcnt vmcnt(0) lgkmcnt(1)
	v_mul_f64 v[38:39], v[32:33], v[36:37]
	v_mul_f64 v[40:41], v[30:31], v[36:37]
	v_fma_f64 v[38:39], v[30:31], v[34:35], -v[38:39]
	v_fmac_f64_e32 v[40:41], v[32:33], v[34:35]
	global_load_dwordx4 v[34:37], v[42:43], off offset:752
	ds_read_b128 v[30:33], v92 offset:17136
	ds_write_b128 v92, v[38:41] offset:14544
	s_waitcnt vmcnt(0) lgkmcnt(1)
	v_mul_f64 v[38:39], v[32:33], v[36:37]
	v_mul_f64 v[40:41], v[30:31], v[36:37]
	v_fma_f64 v[38:39], v[30:31], v[34:35], -v[38:39]
	v_fmac_f64_e32 v[40:41], v[32:33], v[34:35]
	global_load_dwordx4 v[34:37], v[42:43], off offset:3344
	ds_read_b128 v[30:33], v92 offset:19728
	ds_write_b128 v92, v[38:41] offset:17136
	s_waitcnt vmcnt(0) lgkmcnt(1)
	v_mul_f64 v[38:39], v[32:33], v[36:37]
	v_mul_f64 v[40:41], v[30:31], v[36:37]
	v_fma_f64 v[38:39], v[30:31], v[34:35], -v[38:39]
	v_fmac_f64_e32 v[40:41], v[32:33], v[34:35]
	v_add_co_u32_e64 v34, s[0:1], s10, v28
	ds_read_b128 v[30:33], v92 offset:22320
	s_nop 0
	v_addc_co_u32_e64 v35, s[0:1], 0, v29, s[0:1]
	global_load_dwordx4 v[34:37], v[34:35], off offset:1840
	ds_write_b128 v92, v[38:41] offset:19728
	s_waitcnt vmcnt(0) lgkmcnt(1)
	v_mul_f64 v[38:39], v[32:33], v[36:37]
	v_mul_f64 v[40:41], v[30:31], v[36:37]
	v_fma_f64 v[38:39], v[30:31], v[34:35], -v[38:39]
	v_fmac_f64_e32 v[40:41], v[32:33], v[34:35]
	ds_write_b128 v92, v[38:41] offset:22320
	v_add_co_u32_e64 v38, s[0:1], s11, v28
	ds_read_b128 v[30:33], v92 offset:24912
	s_nop 0
	v_addc_co_u32_e64 v39, s[0:1], 0, v29, s[0:1]
	global_load_dwordx4 v[34:37], v[38:39], off offset:336
	s_waitcnt vmcnt(0) lgkmcnt(0)
	v_mul_f64 v[28:29], v[32:33], v[36:37]
	v_fma_f64 v[28:29], v[30:31], v[34:35], -v[28:29]
	v_mul_f64 v[30:31], v[30:31], v[36:37]
	v_fmac_f64_e32 v[30:31], v[32:33], v[34:35]
	global_load_dwordx4 v[32:35], v[38:39], off offset:2928
	ds_write_b128 v92, v[28:31] offset:24912
	ds_read_b128 v[28:31], v92 offset:27504
	s_waitcnt vmcnt(0) lgkmcnt(0)
	v_mul_f64 v[36:37], v[30:31], v[34:35]
	v_mul_f64 v[38:39], v[28:29], v[34:35]
	v_fma_f64 v[36:37], v[28:29], v[32:33], -v[36:37]
	v_fmac_f64_e32 v[38:39], v[30:31], v[32:33]
	ds_write_b128 v92, v[36:39] offset:27504
.LBB0_9:
	s_or_b64 exec, exec, s[8:9]
	s_waitcnt lgkmcnt(0)
	s_barrier
	ds_read_b128 v[56:59], v92
	ds_read_b128 v[68:71], v92 offset:2592
	ds_read_b128 v[52:55], v92 offset:5184
	;; [unrolled: 1-line block ×10, first 2 shown]
	s_and_saveexec_b64 s[0:1], vcc
	s_cbranch_execz .LBB0_11
; %bb.10:
	ds_read_b128 v[0:3], v92 offset:1584
	ds_read_b128 v[4:7], v92 offset:4176
	;; [unrolled: 1-line block ×11, first 2 shown]
.LBB0_11:
	s_or_b64 exec, exec, s[0:1]
	s_waitcnt lgkmcnt(9)
	v_add_f64 v[64:65], v[56:57], v[68:69]
	v_add_f64 v[66:67], v[58:59], v[70:71]
	s_waitcnt lgkmcnt(8)
	v_add_f64 v[64:65], v[64:65], v[52:53]
	v_add_f64 v[66:67], v[66:67], v[54:55]
	;; [unrolled: 3-line block ×7, first 2 shown]
	s_waitcnt lgkmcnt(2)
	v_add_f64 v[64:65], v[64:65], v[48:49]
	s_mov_b32 s8, 0xf8bb580b
	s_mov_b32 s12, 0x8eee2c13
	;; [unrolled: 1-line block ×5, first 2 shown]
	v_add_f64 v[66:67], v[66:67], v[50:51]
	s_waitcnt lgkmcnt(1)
	v_add_f64 v[64:65], v[64:65], v[60:61]
	s_waitcnt lgkmcnt(0)
	v_add_f64 v[78:79], v[70:71], v[74:75]
	v_add_f64 v[70:71], v[70:71], -v[74:75]
	s_mov_b32 s9, 0xbfe14ced
	s_mov_b32 s0, 0x8764f0ba
	;; [unrolled: 1-line block ×9, first 2 shown]
	v_add_f64 v[66:67], v[66:67], v[62:63]
	v_add_f64 v[64:65], v[64:65], v[72:73]
	;; [unrolled: 1-line block ×3, first 2 shown]
	v_add_f64 v[68:69], v[68:69], -v[72:73]
	v_mul_f64 v[72:73], v[70:71], s[8:9]
	s_mov_b32 s1, 0x3feaeb8c
	v_mul_f64 v[84:85], v[70:71], s[12:13]
	s_mov_b32 s11, 0x3fda9628
	;; [unrolled: 2-line block ×4, first 2 shown]
	v_mul_f64 v[70:71], v[70:71], s[26:27]
	v_add_f64 v[66:67], v[66:67], v[74:75]
	v_fma_f64 v[74:75], s[0:1], v[76:77], v[72:73]
	v_fma_f64 v[72:73], v[76:77], s[0:1], -v[72:73]
	v_fma_f64 v[86:87], s[10:11], v[76:77], v[84:85]
	v_fma_f64 v[84:85], v[76:77], s[10:11], -v[84:85]
	;; [unrolled: 2-line block ×5, first 2 shown]
	v_add_f64 v[74:75], v[56:57], v[74:75]
	v_mul_f64 v[80:81], v[78:79], s[0:1]
	s_mov_b32 s25, 0x3fe14ced
	s_mov_b32 s24, s8
	v_add_f64 v[72:73], v[56:57], v[72:73]
	v_add_f64 v[86:87], v[56:57], v[86:87]
	v_mul_f64 v[88:89], v[78:79], s[10:11]
	s_mov_b32 s31, 0x3fed1bb4
	s_mov_b32 s30, s12
	v_add_f64 v[84:85], v[56:57], v[84:85]
	;; [unrolled: 5-line block ×4, first 2 shown]
	v_add_f64 v[112:113], v[56:57], v[112:113]
	v_mul_f64 v[78:79], v[78:79], s[22:23]
	s_mov_b32 s34, s26
	v_add_f64 v[56:57], v[56:57], v[70:71]
	v_add_f64 v[70:71], v[54:55], v[62:63]
	v_add_f64 v[54:55], v[54:55], -v[62:63]
	v_fma_f64 v[82:83], s[24:25], v[68:69], v[80:81]
	v_fmac_f64_e32 v[80:81], s[8:9], v[68:69]
	v_fma_f64 v[90:91], s[30:31], v[68:69], v[88:89]
	v_fmac_f64_e32 v[88:89], s[12:13], v[68:69]
	;; [unrolled: 2-line block ×5, first 2 shown]
	v_add_f64 v[68:69], v[52:53], v[60:61]
	v_add_f64 v[52:53], v[52:53], -v[60:61]
	v_mul_f64 v[60:61], v[54:55], s[12:13]
	v_fma_f64 v[62:63], s[10:11], v[68:69], v[60:61]
	v_add_f64 v[62:63], v[62:63], v[74:75]
	v_mul_f64 v[74:75], v[70:71], s[10:11]
	v_add_f64 v[80:81], v[58:59], v[80:81]
	v_fma_f64 v[76:77], s[30:31], v[52:53], v[74:75]
	v_fma_f64 v[60:61], v[68:69], s[10:11], -v[60:61]
	v_fmac_f64_e32 v[74:75], s[12:13], v[52:53]
	v_add_f64 v[60:61], v[60:61], v[72:73]
	v_add_f64 v[72:73], v[74:75], v[80:81]
	v_mul_f64 v[74:75], v[54:55], s[20:21]
	v_add_f64 v[82:83], v[58:59], v[82:83]
	v_add_f64 v[90:91], v[58:59], v[90:91]
	v_add_f64 v[88:89], v[58:59], v[88:89]
	v_add_f64 v[102:103], v[58:59], v[102:103]
	v_add_f64 v[100:101], v[58:59], v[100:101]
	v_add_f64 v[110:111], v[58:59], v[110:111]
	v_add_f64 v[108:109], v[58:59], v[108:109]
	v_add_f64 v[114:115], v[58:59], v[114:115]
	v_add_f64 v[58:59], v[58:59], v[78:79]
	v_fma_f64 v[78:79], s[18:19], v[68:69], v[74:75]
	v_mul_f64 v[80:81], v[70:71], s[18:19]
	v_fma_f64 v[74:75], v[68:69], s[18:19], -v[74:75]
	v_add_f64 v[76:77], v[76:77], v[82:83]
	v_fma_f64 v[82:83], s[36:37], v[52:53], v[80:81]
	v_add_f64 v[74:75], v[74:75], v[84:85]
	v_fmac_f64_e32 v[80:81], s[20:21], v[52:53]
	v_mul_f64 v[84:85], v[54:55], s[34:35]
	v_add_f64 v[78:79], v[78:79], v[86:87]
	v_add_f64 v[80:81], v[80:81], v[88:89]
	v_fma_f64 v[86:87], s[22:23], v[68:69], v[84:85]
	v_mul_f64 v[88:89], v[70:71], s[22:23]
	v_fma_f64 v[84:85], v[68:69], s[22:23], -v[84:85]
	v_add_f64 v[82:83], v[82:83], v[90:91]
	v_fma_f64 v[90:91], s[26:27], v[52:53], v[88:89]
	v_add_f64 v[84:85], v[84:85], v[96:97]
	v_fmac_f64_e32 v[88:89], s[34:35], v[52:53]
	v_mul_f64 v[96:97], v[54:55], s[28:29]
	v_add_f64 v[86:87], v[86:87], v[98:99]
	v_add_f64 v[88:89], v[88:89], v[100:101]
	v_fma_f64 v[98:99], s[14:15], v[68:69], v[96:97]
	v_mul_f64 v[100:101], v[70:71], s[14:15]
	v_mul_f64 v[70:71], v[70:71], s[0:1]
	v_add_f64 v[98:99], v[98:99], v[106:107]
	v_fma_f64 v[96:97], v[68:69], s[14:15], -v[96:97]
	v_mul_f64 v[54:55], v[54:55], s[24:25]
	v_fma_f64 v[106:107], s[8:9], v[52:53], v[70:71]
	v_fmac_f64_e32 v[70:71], s[24:25], v[52:53]
	v_add_f64 v[90:91], v[90:91], v[102:103]
	v_fma_f64 v[102:103], s[16:17], v[52:53], v[100:101]
	v_add_f64 v[96:97], v[96:97], v[104:105]
	v_fmac_f64_e32 v[100:101], s[28:29], v[52:53]
	v_fma_f64 v[104:105], s[0:1], v[68:69], v[54:55]
	v_fma_f64 v[54:55], v[68:69], s[0:1], -v[54:55]
	v_add_f64 v[52:53], v[70:71], v[58:59]
	v_add_f64 v[58:59], v[46:47], v[50:51]
	v_add_f64 v[46:47], v[46:47], -v[50:51]
	v_add_f64 v[54:55], v[54:55], v[56:57]
	v_add_f64 v[56:57], v[44:45], v[48:49]
	v_add_f64 v[44:45], v[44:45], -v[48:49]
	v_mul_f64 v[48:49], v[46:47], s[16:17]
	v_fma_f64 v[50:51], s[14:15], v[56:57], v[48:49]
	v_add_f64 v[50:51], v[50:51], v[62:63]
	v_mul_f64 v[62:63], v[58:59], s[14:15]
	v_fma_f64 v[68:69], s[28:29], v[44:45], v[62:63]
	v_fma_f64 v[48:49], v[56:57], s[14:15], -v[48:49]
	v_fmac_f64_e32 v[62:63], s[16:17], v[44:45]
	v_add_f64 v[48:49], v[48:49], v[60:61]
	v_add_f64 v[60:61], v[62:63], v[72:73]
	v_mul_f64 v[62:63], v[46:47], s[34:35]
	v_fma_f64 v[70:71], s[22:23], v[56:57], v[62:63]
	v_fma_f64 v[62:63], v[56:57], s[22:23], -v[62:63]
	v_mul_f64 v[72:73], v[58:59], s[22:23]
	v_add_f64 v[62:63], v[62:63], v[74:75]
	v_mul_f64 v[74:75], v[46:47], s[30:31]
	v_add_f64 v[68:69], v[68:69], v[76:77]
	v_add_f64 v[70:71], v[70:71], v[78:79]
	v_fma_f64 v[76:77], s[26:27], v[44:45], v[72:73]
	v_fmac_f64_e32 v[72:73], s[34:35], v[44:45]
	v_fma_f64 v[78:79], s[10:11], v[56:57], v[74:75]
	v_fma_f64 v[74:75], v[56:57], s[10:11], -v[74:75]
	v_add_f64 v[72:73], v[72:73], v[80:81]
	v_mul_f64 v[80:81], v[58:59], s[10:11]
	v_add_f64 v[74:75], v[74:75], v[84:85]
	v_mul_f64 v[84:85], v[46:47], s[8:9]
	v_add_f64 v[76:77], v[76:77], v[82:83]
	v_add_f64 v[78:79], v[78:79], v[86:87]
	v_fma_f64 v[82:83], s[12:13], v[44:45], v[80:81]
	v_fmac_f64_e32 v[80:81], s[30:31], v[44:45]
	v_fma_f64 v[86:87], s[0:1], v[56:57], v[84:85]
	v_fma_f64 v[84:85], v[56:57], s[0:1], -v[84:85]
	v_mul_f64 v[46:47], v[46:47], s[20:21]
	v_add_f64 v[80:81], v[80:81], v[88:89]
	v_mul_f64 v[88:89], v[58:59], s[0:1]
	v_add_f64 v[84:85], v[84:85], v[96:97]
	v_fma_f64 v[96:97], s[18:19], v[56:57], v[46:47]
	v_mul_f64 v[58:59], v[58:59], s[18:19]
	v_fma_f64 v[46:47], v[56:57], s[18:19], -v[46:47]
	v_add_f64 v[86:87], v[86:87], v[98:99]
	v_fma_f64 v[98:99], s[36:37], v[44:45], v[58:59]
	v_add_f64 v[46:47], v[46:47], v[54:55]
	v_fmac_f64_e32 v[58:59], s[20:21], v[44:45]
	v_add_f64 v[54:55], v[38:39], v[42:43]
	v_add_f64 v[38:39], v[38:39], -v[42:43]
	v_add_f64 v[82:83], v[82:83], v[90:91]
	v_fma_f64 v[90:91], s[24:25], v[44:45], v[88:89]
	v_fmac_f64_e32 v[88:89], s[8:9], v[44:45]
	v_add_f64 v[44:45], v[58:59], v[52:53]
	v_add_f64 v[52:53], v[36:37], v[40:41]
	v_add_f64 v[36:37], v[36:37], -v[40:41]
	v_mul_f64 v[40:41], v[38:39], s[20:21]
	v_fma_f64 v[42:43], s[18:19], v[52:53], v[40:41]
	v_add_f64 v[42:43], v[42:43], v[50:51]
	v_mul_f64 v[50:51], v[54:55], s[18:19]
	v_fma_f64 v[56:57], s[36:37], v[36:37], v[50:51]
	v_fma_f64 v[40:41], v[52:53], s[18:19], -v[40:41]
	v_fmac_f64_e32 v[50:51], s[20:21], v[36:37]
	v_add_f64 v[40:41], v[40:41], v[48:49]
	v_add_f64 v[48:49], v[50:51], v[60:61]
	v_mul_f64 v[50:51], v[38:39], s[28:29]
	v_fma_f64 v[58:59], s[14:15], v[52:53], v[50:51]
	v_mul_f64 v[60:61], v[54:55], s[14:15]
	v_fma_f64 v[50:51], v[52:53], s[14:15], -v[50:51]
	v_add_f64 v[56:57], v[56:57], v[68:69]
	v_fma_f64 v[68:69], s[16:17], v[36:37], v[60:61]
	v_add_f64 v[50:51], v[50:51], v[62:63]
	v_fmac_f64_e32 v[60:61], s[28:29], v[36:37]
	v_mul_f64 v[62:63], v[38:39], s[8:9]
	v_add_f64 v[58:59], v[58:59], v[70:71]
	v_add_f64 v[60:61], v[60:61], v[72:73]
	v_fma_f64 v[70:71], s[0:1], v[52:53], v[62:63]
	v_mul_f64 v[72:73], v[54:55], s[0:1]
	v_fma_f64 v[62:63], v[52:53], s[0:1], -v[62:63]
	v_add_f64 v[68:69], v[68:69], v[76:77]
	v_fma_f64 v[76:77], s[24:25], v[36:37], v[72:73]
	v_add_f64 v[62:63], v[62:63], v[74:75]
	v_fmac_f64_e32 v[72:73], s[8:9], v[36:37]
	v_mul_f64 v[74:75], v[38:39], s[26:27]
	v_add_f64 v[106:107], v[106:107], v[114:115]
	v_add_f64 v[70:71], v[70:71], v[78:79]
	;; [unrolled: 1-line block ×3, first 2 shown]
	v_fma_f64 v[78:79], s[22:23], v[52:53], v[74:75]
	v_mul_f64 v[80:81], v[54:55], s[22:23]
	v_mul_f64 v[54:55], v[54:55], s[10:11]
	v_add_f64 v[102:103], v[102:103], v[110:111]
	v_add_f64 v[104:105], v[104:105], v[112:113]
	;; [unrolled: 1-line block ×4, first 2 shown]
	v_fma_f64 v[74:75], v[52:53], s[22:23], -v[74:75]
	v_mul_f64 v[38:39], v[38:39], s[30:31]
	v_fma_f64 v[86:87], s[12:13], v[36:37], v[54:55]
	v_add_f64 v[100:101], v[100:101], v[108:109]
	v_add_f64 v[90:91], v[90:91], v[102:103]
	v_add_f64 v[96:97], v[96:97], v[104:105]
	v_add_f64 v[74:75], v[74:75], v[84:85]
	v_fma_f64 v[84:85], s[10:11], v[52:53], v[38:39]
	v_add_f64 v[86:87], v[86:87], v[98:99]
	v_add_f64 v[98:99], v[30:31], v[34:35]
	v_add_f64 v[102:103], v[30:31], -v[34:35]
	v_add_f64 v[88:89], v[88:89], v[100:101]
	v_add_f64 v[84:85], v[84:85], v[96:97]
	;; [unrolled: 1-line block ×3, first 2 shown]
	v_add_f64 v[100:101], v[28:29], -v[32:33]
	v_mul_f64 v[32:33], v[102:103], s[26:27]
	v_mul_f64 v[34:35], v[98:99], s[22:23]
	v_fma_f64 v[28:29], s[22:23], v[96:97], v[32:33]
	v_fma_f64 v[30:31], s[34:35], v[100:101], v[34:35]
	v_fma_f64 v[32:33], v[96:97], s[22:23], -v[32:33]
	v_fmac_f64_e32 v[34:35], s[26:27], v[100:101]
	v_add_f64 v[76:77], v[76:77], v[82:83]
	v_fma_f64 v[82:83], s[34:35], v[36:37], v[80:81]
	v_fmac_f64_e32 v[80:81], s[26:27], v[36:37]
	v_fma_f64 v[38:39], v[52:53], s[10:11], -v[38:39]
	v_fmac_f64_e32 v[54:55], s[30:31], v[36:37]
	v_add_f64 v[28:29], v[28:29], v[42:43]
	v_add_f64 v[32:33], v[32:33], v[40:41]
	;; [unrolled: 1-line block ×3, first 2 shown]
	v_mul_f64 v[40:41], v[102:103], s[24:25]
	v_mul_f64 v[42:43], v[98:99], s[0:1]
	;; [unrolled: 1-line block ×3, first 2 shown]
	v_add_f64 v[82:83], v[82:83], v[90:91]
	v_add_f64 v[80:81], v[80:81], v[88:89]
	v_add_f64 v[88:89], v[38:39], v[46:47]
	v_add_f64 v[90:91], v[54:55], v[44:45]
	v_fma_f64 v[36:37], s[0:1], v[96:97], v[40:41]
	v_fma_f64 v[38:39], s[8:9], v[100:101], v[42:43]
	v_fma_f64 v[40:41], v[96:97], s[0:1], -v[40:41]
	v_fma_f64 v[44:45], s[18:19], v[96:97], v[48:49]
	v_add_f64 v[30:31], v[30:31], v[56:57]
	v_add_f64 v[36:37], v[36:37], v[58:59]
	;; [unrolled: 1-line block ×4, first 2 shown]
	v_fmac_f64_e32 v[42:43], s[24:25], v[100:101]
	v_add_f64 v[44:45], v[44:45], v[70:71]
	v_mul_f64 v[50:51], v[98:99], s[18:19]
	v_fma_f64 v[48:49], v[96:97], s[18:19], -v[48:49]
	v_mul_f64 v[56:57], v[102:103], s[30:31]
	v_mul_f64 v[58:59], v[98:99], s[10:11]
	;; [unrolled: 1-line block ×4, first 2 shown]
	v_add_f64 v[42:43], v[42:43], v[60:61]
	v_fma_f64 v[46:47], s[36:37], v[100:101], v[50:51]
	v_add_f64 v[48:49], v[48:49], v[62:63]
	v_fmac_f64_e32 v[50:51], s[20:21], v[100:101]
	v_fma_f64 v[52:53], s[10:11], v[96:97], v[56:57]
	v_fma_f64 v[54:55], s[12:13], v[100:101], v[58:59]
	v_fma_f64 v[56:57], v[96:97], s[10:11], -v[56:57]
	v_fmac_f64_e32 v[58:59], s[30:31], v[100:101]
	v_fma_f64 v[60:61], s[14:15], v[96:97], v[68:69]
	v_fma_f64 v[62:63], s[28:29], v[100:101], v[70:71]
	v_fma_f64 v[68:69], v[96:97], s[14:15], -v[68:69]
	v_fmac_f64_e32 v[70:71], s[16:17], v[100:101]
	v_add_f64 v[46:47], v[46:47], v[76:77]
	v_add_f64 v[50:51], v[50:51], v[72:73]
	;; [unrolled: 1-line block ×10, first 2 shown]
	s_barrier
	ds_write_b128 v93, v[64:67]
	ds_write_b128 v93, v[28:31] offset:16
	ds_write_b128 v93, v[36:39] offset:32
	;; [unrolled: 1-line block ×10, first 2 shown]
	s_and_saveexec_b64 s[36:37], vcc
	s_cbranch_execz .LBB0_13
; %bb.12:
	v_accvgpr_write_b32 a64, v140
	v_accvgpr_write_b32 a65, v141
	v_accvgpr_write_b32 a66, v142
	v_accvgpr_write_b32 a67, v143
	v_accvgpr_read_b32 v143, a63
	v_accvgpr_read_b32 v142, a62
	v_accvgpr_read_b32 v141, a61
	v_accvgpr_read_b32 v140, a60
	v_accvgpr_write_b32 a60, v136
	v_accvgpr_write_b32 a61, v137
	v_accvgpr_write_b32 a62, v138
	v_accvgpr_write_b32 a63, v139
	v_accvgpr_read_b32 v139, a59
	v_accvgpr_read_b32 v138, a58
	v_accvgpr_read_b32 v137, a57
	v_accvgpr_read_b32 v136, a56
	v_accvgpr_write_b32 a56, v132
	v_accvgpr_write_b32 a57, v133
	v_accvgpr_write_b32 a58, v134
	v_accvgpr_write_b32 a59, v135
	v_accvgpr_read_b32 v135, a55
	v_accvgpr_read_b32 v134, a54
	v_accvgpr_read_b32 v133, a53
	v_accvgpr_read_b32 v132, a52
	v_accvgpr_write_b32 a52, v128
	v_accvgpr_write_b32 a53, v129
	v_accvgpr_write_b32 a54, v130
	v_accvgpr_write_b32 a55, v131
	v_accvgpr_read_b32 v131, a51
	v_accvgpr_read_b32 v129, a49
	v_accvgpr_read_b32 v128, a48
	v_accvgpr_read_b32 v130, a50
	v_add_f64 v[72:73], v[4:5], -v[128:129]
	v_add_f64 v[70:71], v[8:9], -v[132:133]
	v_mul_f64 v[76:77], v[72:73], s[26:27]
	v_add_f64 v[52:53], v[6:7], v[130:131]
	v_add_f64 v[68:69], v[12:13], -v[136:137]
	v_mul_f64 v[40:41], v[70:71], s[24:25]
	v_add_f64 v[50:51], v[10:11], v[134:135]
	v_fma_f64 v[54:55], s[22:23], v[52:53], v[76:77]
	v_fma_f64 v[76:77], v[52:53], s[22:23], -v[76:77]
	v_add_f64 v[66:67], v[16:17], -v[140:141]
	v_mul_f64 v[36:37], v[68:69], s[20:21]
	v_add_f64 v[48:49], v[14:15], v[138:139]
	v_fma_f64 v[42:43], s[0:1], v[50:51], v[40:41]
	v_fma_f64 v[40:41], v[50:51], s[0:1], -v[40:41]
	v_add_f64 v[76:77], v[2:3], v[76:77]
	v_add_f64 v[64:65], v[20:21], -v[24:25]
	v_mul_f64 v[34:35], v[66:67], s[30:31]
	v_add_f64 v[46:47], v[18:19], v[142:143]
	v_fma_f64 v[38:39], s[18:19], v[48:49], v[36:37]
	v_add_f64 v[102:103], v[6:7], -v[130:131]
	v_fma_f64 v[36:37], v[48:49], s[18:19], -v[36:37]
	v_add_f64 v[40:41], v[40:41], v[76:77]
	v_mul_f64 v[32:33], v[64:65], s[16:17]
	v_add_f64 v[44:45], v[22:23], v[26:27]
	v_fma_f64 v[30:31], s[10:11], v[46:47], v[34:35]
	v_add_f64 v[100:101], v[10:11], -v[134:135]
	v_add_f64 v[62:63], v[4:5], v[128:129]
	v_mul_f64 v[96:97], v[102:103], s[26:27]
	v_fma_f64 v[34:35], v[46:47], s[10:11], -v[34:35]
	v_add_f64 v[36:37], v[36:37], v[40:41]
	v_fma_f64 v[28:29], s[14:15], v[44:45], v[32:33]
	v_add_f64 v[54:55], v[2:3], v[54:55]
	v_add_f64 v[82:83], v[14:15], -v[138:139]
	v_add_f64 v[60:61], v[8:9], v[132:133]
	v_mul_f64 v[88:89], v[100:101], s[24:25]
	v_fma_f64 v[98:99], v[62:63], s[22:23], -v[96:97]
	v_fma_f64 v[32:33], v[44:45], s[14:15], -v[32:33]
	v_add_f64 v[34:35], v[34:35], v[36:37]
	v_fmac_f64_e32 v[96:97], s[22:23], v[62:63]
	v_add_f64 v[42:43], v[42:43], v[54:55]
	v_add_f64 v[80:81], v[18:19], -v[142:143]
	v_add_f64 v[58:59], v[12:13], v[136:137]
	v_mul_f64 v[84:85], v[82:83], s[20:21]
	v_fma_f64 v[90:91], v[60:61], s[0:1], -v[88:89]
	v_add_f64 v[98:99], v[0:1], v[98:99]
	v_add_f64 v[34:35], v[32:33], v[34:35]
	v_fmac_f64_e32 v[88:89], s[0:1], v[60:61]
	v_add_f64 v[32:33], v[0:1], v[96:97]
	v_add_f64 v[38:39], v[38:39], v[42:43]
	v_add_f64 v[74:75], v[22:23], -v[26:27]
	v_add_f64 v[56:57], v[16:17], v[140:141]
	v_mul_f64 v[42:43], v[80:81], s[30:31]
	v_fma_f64 v[86:87], v[58:59], s[18:19], -v[84:85]
	v_add_f64 v[90:91], v[90:91], v[98:99]
	v_fmac_f64_e32 v[84:85], s[18:19], v[58:59]
	v_add_f64 v[32:33], v[88:89], v[32:33]
	v_mul_f64 v[88:89], v[72:73], s[20:21]
	v_add_f64 v[30:31], v[30:31], v[38:39]
	v_add_f64 v[54:55], v[20:21], v[24:25]
	v_mul_f64 v[38:39], v[74:75], s[16:17]
	v_fma_f64 v[78:79], v[56:57], s[10:11], -v[42:43]
	v_add_f64 v[86:87], v[86:87], v[90:91]
	v_add_f64 v[32:33], v[84:85], v[32:33]
	v_mul_f64 v[84:85], v[70:71], s[28:29]
	v_fma_f64 v[90:91], s[18:19], v[52:53], v[88:89]
	v_fma_f64 v[88:89], v[52:53], s[18:19], -v[88:89]
	v_add_f64 v[30:31], v[28:29], v[30:31]
	v_fma_f64 v[28:29], v[54:55], s[14:15], -v[38:39]
	v_add_f64 v[78:79], v[78:79], v[86:87]
	v_fmac_f64_e32 v[42:43], s[10:11], v[56:57]
	v_mul_f64 v[76:77], v[68:69], s[8:9]
	v_fma_f64 v[86:87], s[14:15], v[50:51], v[84:85]
	v_fma_f64 v[84:85], v[50:51], s[14:15], -v[84:85]
	v_add_f64 v[88:89], v[2:3], v[88:89]
	v_add_f64 v[28:29], v[28:29], v[78:79]
	v_fmac_f64_e32 v[38:39], s[14:15], v[54:55]
	v_add_f64 v[32:33], v[42:43], v[32:33]
	v_mul_f64 v[42:43], v[66:67], s[26:27]
	v_fma_f64 v[78:79], s[0:1], v[48:49], v[76:77]
	v_mul_f64 v[108:109], v[102:103], s[20:21]
	v_fma_f64 v[76:77], v[48:49], s[0:1], -v[76:77]
	v_add_f64 v[84:85], v[84:85], v[88:89]
	v_add_f64 v[32:33], v[38:39], v[32:33]
	v_mul_f64 v[40:41], v[64:65], s[30:31]
	v_fma_f64 v[38:39], s[22:23], v[46:47], v[42:43]
	v_add_f64 v[90:91], v[2:3], v[90:91]
	v_mul_f64 v[104:105], v[100:101], s[28:29]
	v_fma_f64 v[110:111], v[62:63], s[18:19], -v[108:109]
	v_fma_f64 v[42:43], v[46:47], s[22:23], -v[42:43]
	v_add_f64 v[76:77], v[76:77], v[84:85]
	v_fma_f64 v[36:37], s[10:11], v[44:45], v[40:41]
	v_add_f64 v[86:87], v[86:87], v[90:91]
	v_mul_f64 v[96:97], v[82:83], s[8:9]
	v_fma_f64 v[106:107], v[60:61], s[14:15], -v[104:105]
	v_add_f64 v[110:111], v[0:1], v[110:111]
	v_fma_f64 v[40:41], v[44:45], s[10:11], -v[40:41]
	v_add_f64 v[42:43], v[42:43], v[76:77]
	v_fmac_f64_e32 v[108:109], s[18:19], v[62:63]
	v_add_f64 v[78:79], v[78:79], v[86:87]
	v_mul_f64 v[86:87], v[80:81], s[26:27]
	v_fma_f64 v[98:99], v[58:59], s[0:1], -v[96:97]
	v_add_f64 v[106:107], v[106:107], v[110:111]
	v_add_f64 v[42:43], v[40:41], v[42:43]
	v_fmac_f64_e32 v[104:105], s[14:15], v[60:61]
	v_add_f64 v[40:41], v[0:1], v[108:109]
	v_add_f64 v[38:39], v[38:39], v[78:79]
	v_mul_f64 v[78:79], v[74:75], s[30:31]
	v_fma_f64 v[90:91], v[56:57], s[22:23], -v[86:87]
	v_add_f64 v[98:99], v[98:99], v[106:107]
	v_fmac_f64_e32 v[96:97], s[0:1], v[58:59]
	v_add_f64 v[40:41], v[104:105], v[40:41]
	v_mul_f64 v[104:105], v[72:73], s[16:17]
	v_add_f64 v[38:39], v[36:37], v[38:39]
	v_fma_f64 v[36:37], v[54:55], s[10:11], -v[78:79]
	v_add_f64 v[90:91], v[90:91], v[98:99]
	v_add_f64 v[40:41], v[96:97], v[40:41]
	v_mul_f64 v[96:97], v[70:71], s[34:35]
	v_fma_f64 v[106:107], s[14:15], v[52:53], v[104:105]
	v_fma_f64 v[104:105], v[52:53], s[14:15], -v[104:105]
	v_add_f64 v[36:37], v[36:37], v[90:91]
	v_fmac_f64_e32 v[86:87], s[22:23], v[56:57]
	v_mul_f64 v[90:91], v[68:69], s[30:31]
	v_fma_f64 v[98:99], s[22:23], v[50:51], v[96:97]
	v_fma_f64 v[96:97], v[50:51], s[22:23], -v[96:97]
	v_add_f64 v[104:105], v[2:3], v[104:105]
	v_add_f64 v[40:41], v[86:87], v[40:41]
	v_mul_f64 v[88:89], v[66:67], s[8:9]
	v_fma_f64 v[86:87], s[10:11], v[48:49], v[90:91]
	v_fma_f64 v[90:91], v[48:49], s[10:11], -v[90:91]
	v_add_f64 v[96:97], v[96:97], v[104:105]
	v_fmac_f64_e32 v[78:79], s[10:11], v[54:55]
	v_mul_f64 v[76:77], v[64:65], s[20:21]
	v_fma_f64 v[84:85], s[0:1], v[46:47], v[88:89]
	v_add_f64 v[106:107], v[2:3], v[106:107]
	v_mov_b32_e32 v93, v116
	v_accvgpr_write_b32 a117, v117
	v_mul_f64 v[116:117], v[102:103], s[16:17]
	v_fma_f64 v[88:89], v[46:47], s[0:1], -v[88:89]
	v_add_f64 v[90:91], v[90:91], v[96:97]
	v_add_f64 v[40:41], v[78:79], v[40:41]
	v_fma_f64 v[78:79], s[18:19], v[44:45], v[76:77]
	v_add_f64 v[98:99], v[98:99], v[106:107]
	v_mul_f64 v[112:113], v[100:101], s[34:35]
	v_accvgpr_write_b32 a138, v119
	v_fma_f64 v[118:119], v[62:63], s[14:15], -v[116:117]
	v_fma_f64 v[76:77], v[44:45], s[18:19], -v[76:77]
	v_add_f64 v[88:89], v[88:89], v[90:91]
	v_fmac_f64_e32 v[116:117], s[14:15], v[62:63]
	v_add_f64 v[86:87], v[86:87], v[98:99]
	v_mul_f64 v[108:109], v[82:83], s[30:31]
	v_fma_f64 v[114:115], v[60:61], s[22:23], -v[112:113]
	v_add_f64 v[118:119], v[0:1], v[118:119]
	v_add_f64 v[90:91], v[76:77], v[88:89]
	v_fmac_f64_e32 v[112:113], s[22:23], v[60:61]
	v_add_f64 v[76:77], v[0:1], v[116:117]
	v_add_f64 v[84:85], v[84:85], v[86:87]
	v_mul_f64 v[98:99], v[80:81], s[8:9]
	v_fma_f64 v[110:111], v[58:59], s[10:11], -v[108:109]
	v_add_f64 v[114:115], v[114:115], v[118:119]
	v_fmac_f64_e32 v[108:109], s[10:11], v[58:59]
	v_add_f64 v[76:77], v[112:113], v[76:77]
	v_mul_f64 v[112:113], v[72:73], s[12:13]
	v_add_f64 v[86:87], v[78:79], v[84:85]
	v_mul_f64 v[78:79], v[74:75], s[20:21]
	v_fma_f64 v[106:107], v[56:57], s[0:1], -v[98:99]
	v_add_f64 v[110:111], v[110:111], v[114:115]
	v_add_f64 v[76:77], v[108:109], v[76:77]
	v_mul_f64 v[108:109], v[70:71], s[20:21]
	v_fma_f64 v[114:115], s[10:11], v[52:53], v[112:113]
	v_fma_f64 v[112:113], v[52:53], s[10:11], -v[112:113]
	v_fma_f64 v[84:85], v[54:55], s[18:19], -v[78:79]
	v_add_f64 v[106:107], v[106:107], v[110:111]
	v_fmac_f64_e32 v[98:99], s[0:1], v[56:57]
	v_mul_f64 v[104:105], v[68:69], s[34:35]
	v_fma_f64 v[110:111], s[18:19], v[50:51], v[108:109]
	v_fma_f64 v[108:109], v[50:51], s[18:19], -v[108:109]
	v_add_f64 v[112:113], v[2:3], v[112:113]
	v_add_f64 v[84:85], v[84:85], v[106:107]
	v_fmac_f64_e32 v[78:79], s[18:19], v[54:55]
	v_add_f64 v[76:77], v[98:99], v[76:77]
	v_mul_f64 v[98:99], v[66:67], s[28:29]
	v_fma_f64 v[106:107], s[22:23], v[48:49], v[104:105]
	v_accvgpr_write_b32 a48, v124
	v_fma_f64 v[104:105], v[48:49], s[22:23], -v[104:105]
	v_add_f64 v[108:109], v[108:109], v[112:113]
	v_add_f64 v[88:89], v[78:79], v[76:77]
	v_mul_f64 v[96:97], v[64:65], s[24:25]
	v_fma_f64 v[78:79], s[14:15], v[46:47], v[98:99]
	v_accvgpr_write_b32 a100, v120
	v_accvgpr_write_b32 a49, v125
	;; [unrolled: 1-line block ×4, first 2 shown]
	v_mul_f64 v[124:125], v[102:103], s[12:13]
	v_fma_f64 v[98:99], v[46:47], s[14:15], -v[98:99]
	v_add_f64 v[104:105], v[104:105], v[108:109]
	v_fma_f64 v[76:77], s[0:1], v[44:45], v[96:97]
	v_add_f64 v[114:115], v[2:3], v[114:115]
	v_accvgpr_write_b32 a101, v121
	v_accvgpr_write_b32 a102, v122
	;; [unrolled: 1-line block ×3, first 2 shown]
	v_mul_f64 v[120:121], v[100:101], s[20:21]
	v_fma_f64 v[126:127], v[62:63], s[10:11], -v[124:125]
	v_fma_f64 v[96:97], v[44:45], s[0:1], -v[96:97]
	v_add_f64 v[98:99], v[98:99], v[104:105]
	v_fmac_f64_e32 v[124:125], s[10:11], v[62:63]
	v_add_f64 v[110:111], v[110:111], v[114:115]
	v_mul_f64 v[116:117], v[82:83], s[34:35]
	v_fma_f64 v[122:123], v[60:61], s[18:19], -v[120:121]
	v_add_f64 v[98:99], v[96:97], v[98:99]
	v_fmac_f64_e32 v[120:121], s[18:19], v[60:61]
	v_add_f64 v[96:97], v[0:1], v[124:125]
	v_add_f64 v[106:107], v[106:107], v[110:111]
	v_mul_f64 v[110:111], v[80:81], s[28:29]
	v_fma_f64 v[118:119], v[58:59], s[22:23], -v[116:117]
	v_fmac_f64_e32 v[116:117], s[22:23], v[58:59]
	v_add_f64 v[96:97], v[120:121], v[96:97]
	v_mul_f64 v[72:73], v[72:73], s[8:9]
	v_add_f64 v[78:79], v[78:79], v[106:107]
	v_mul_f64 v[106:107], v[74:75], s[24:25]
	v_fma_f64 v[114:115], v[56:57], s[14:15], -v[110:111]
	v_add_f64 v[126:127], v[0:1], v[126:127]
	v_fmac_f64_e32 v[110:111], s[14:15], v[56:57]
	v_add_f64 v[96:97], v[116:117], v[96:97]
	v_mul_f64 v[70:71], v[70:71], s[12:13]
	v_fma_f64 v[112:113], s[0:1], v[52:53], v[72:73]
	v_fma_f64 v[52:53], v[52:53], s[0:1], -v[72:73]
	v_add_f64 v[78:79], v[76:77], v[78:79]
	v_fma_f64 v[76:77], v[54:55], s[0:1], -v[106:107]
	v_add_f64 v[122:123], v[122:123], v[126:127]
	v_fmac_f64_e32 v[106:107], s[0:1], v[54:55]
	v_add_f64 v[96:97], v[110:111], v[96:97]
	v_mul_f64 v[68:69], v[68:69], s[16:17]
	v_fma_f64 v[110:111], s[10:11], v[50:51], v[70:71]
	v_fma_f64 v[50:51], v[50:51], s[10:11], -v[70:71]
	v_add_f64 v[52:53], v[2:3], v[52:53]
	v_add_f64 v[118:119], v[118:119], v[122:123]
	;; [unrolled: 1-line block ×3, first 2 shown]
	v_mul_f64 v[106:107], v[66:67], s[20:21]
	v_fma_f64 v[108:109], s[14:15], v[48:49], v[68:69]
	v_fma_f64 v[48:49], v[48:49], s[14:15], -v[68:69]
	v_add_f64 v[50:51], v[50:51], v[52:53]
	v_add_f64 v[114:115], v[114:115], v[118:119]
	v_mul_f64 v[104:105], v[64:65], s[26:27]
	v_fma_f64 v[66:67], s[18:19], v[46:47], v[106:107]
	v_mul_f64 v[102:103], v[102:103], s[8:9]
	v_fma_f64 v[46:47], v[46:47], s[18:19], -v[106:107]
	v_add_f64 v[48:49], v[48:49], v[50:51]
	v_add_f64 v[76:77], v[76:77], v[114:115]
	v_fma_f64 v[64:65], s[22:23], v[44:45], v[104:105]
	v_fma_f64 v[114:115], v[62:63], s[0:1], -v[102:103]
	v_fma_f64 v[44:45], v[44:45], s[22:23], -v[104:105]
	v_add_f64 v[46:47], v[46:47], v[48:49]
	v_fmac_f64_e32 v[102:103], s[0:1], v[62:63]
	v_add_f64 v[112:113], v[2:3], v[112:113]
	v_add_f64 v[114:115], v[0:1], v[114:115]
	v_add_f64 v[46:47], v[44:45], v[46:47]
	v_add_f64 v[44:45], v[0:1], v[102:103]
	v_add_f64 v[2:3], v[2:3], v[6:7]
	v_add_f64 v[0:1], v[0:1], v[4:5]
	v_add_f64 v[2:3], v[2:3], v[10:11]
	v_add_f64 v[0:1], v[0:1], v[8:9]
	v_add_f64 v[2:3], v[2:3], v[14:15]
	v_add_f64 v[0:1], v[0:1], v[12:13]
	v_add_f64 v[2:3], v[2:3], v[18:19]
	v_add_f64 v[0:1], v[0:1], v[16:17]
	v_add_f64 v[2:3], v[2:3], v[22:23]
	v_add_f64 v[0:1], v[0:1], v[20:21]
	v_add_f64 v[2:3], v[2:3], v[26:27]
	v_add_f64 v[0:1], v[0:1], v[24:25]
	v_mul_f64 v[100:101], v[100:101], s[12:13]
	v_add_f64 v[2:3], v[2:3], v[142:143]
	v_add_f64 v[0:1], v[0:1], v[140:141]
	;; [unrolled: 1-line block ×3, first 2 shown]
	v_mul_f64 v[82:83], v[82:83], s[16:17]
	v_fma_f64 v[112:113], v[60:61], s[10:11], -v[100:101]
	v_fmac_f64_e32 v[100:101], s[10:11], v[60:61]
	v_add_f64 v[2:3], v[2:3], v[138:139]
	v_add_f64 v[0:1], v[0:1], v[136:137]
	;; [unrolled: 1-line block ×3, first 2 shown]
	v_mul_f64 v[80:81], v[80:81], s[20:21]
	v_fma_f64 v[110:111], v[58:59], s[14:15], -v[82:83]
	v_add_f64 v[112:113], v[112:113], v[114:115]
	v_fmac_f64_e32 v[82:83], s[14:15], v[58:59]
	v_add_f64 v[44:45], v[100:101], v[44:45]
	v_add_f64 v[2:3], v[2:3], v[134:135]
	;; [unrolled: 1-line block ×3, first 2 shown]
	v_accvgpr_read_b32 v127, a51
	v_accvgpr_read_b32 v123, a103
	v_add_f64 v[66:67], v[66:67], v[108:109]
	v_mul_f64 v[74:75], v[74:75], s[26:27]
	v_fma_f64 v[108:109], v[56:57], s[18:19], -v[80:81]
	v_add_f64 v[110:111], v[110:111], v[112:113]
	v_fmac_f64_e32 v[80:81], s[18:19], v[56:57]
	v_add_f64 v[44:45], v[82:83], v[44:45]
	v_add_f64 v[2:3], v[2:3], v[130:131]
	v_accvgpr_read_b32 v143, a67
	v_accvgpr_read_b32 v139, a63
	v_accvgpr_read_b32 v135, a59
	v_add_f64 v[0:1], v[0:1], v[128:129]
	v_accvgpr_read_b32 v131, a55
	v_accvgpr_read_b32 v4, a1
	;; [unrolled: 1-line block ×10, first 2 shown]
	v_mov_b32_e32 v116, v93
	v_add_f64 v[66:67], v[64:65], v[66:67]
	v_fma_f64 v[64:65], v[54:55], s[22:23], -v[74:75]
	v_add_f64 v[108:109], v[108:109], v[110:111]
	v_fmac_f64_e32 v[74:75], s[22:23], v[54:55]
	v_add_f64 v[44:45], v[80:81], v[44:45]
	v_accvgpr_read_b32 v142, a66
	v_accvgpr_read_b32 v141, a65
	;; [unrolled: 1-line block ×12, first 2 shown]
	v_lshlrev_b32_e32 v4, 4, v4
	v_add_f64 v[64:65], v[64:65], v[108:109]
	v_add_f64 v[44:45], v[74:75], v[44:45]
	ds_write_b128 v4, v[0:3]
	ds_write_b128 v4, v[44:47] offset:16
	ds_write_b128 v4, v[96:99] offset:32
	;; [unrolled: 1-line block ×10, first 2 shown]
.LBB0_13:
	s_or_b64 exec, exec, s[36:37]
	s_waitcnt lgkmcnt(0)
	s_barrier
	ds_read_b128 v[0:3], v92 offset:9504
	ds_read_b128 v[4:7], v92 offset:11088
	v_accvgpr_read_b32 v12, a76
	v_accvgpr_read_b32 v14, a78
	;; [unrolled: 1-line block ×3, first 2 shown]
	s_waitcnt lgkmcnt(1)
	v_mul_f64 v[56:57], v[130:131], v[2:3]
	v_fmac_f64_e32 v[56:57], v[128:129], v[0:1]
	v_mul_f64 v[0:1], v[130:131], v[0:1]
	v_fma_f64 v[58:59], v[128:129], v[2:3], -v[0:1]
	ds_read_b128 v[0:3], v92 offset:19008
	ds_read_b128 v[8:11], v92 offset:20592
	s_waitcnt lgkmcnt(2)
	v_mul_f64 v[48:49], v[138:139], v[6:7]
	v_fmac_f64_e32 v[48:49], v[136:137], v[4:5]
	v_accvgpr_read_b32 v13, a77
	s_waitcnt lgkmcnt(1)
	v_mul_f64 v[60:61], v[126:127], v[2:3]
	v_fmac_f64_e32 v[60:61], v[124:125], v[0:1]
	v_mul_f64 v[0:1], v[126:127], v[0:1]
	v_fma_f64 v[62:63], v[124:125], v[2:3], -v[0:1]
	v_mul_f64 v[0:1], v[138:139], v[4:5]
	v_fma_f64 v[50:51], v[136:137], v[6:7], -v[0:1]
	s_waitcnt lgkmcnt(0)
	v_mul_f64 v[0:1], v[134:135], v[8:9]
	v_fma_f64 v[54:55], v[132:133], v[10:11], -v[0:1]
	ds_read_b128 v[0:3], v92 offset:12672
	ds_read_b128 v[4:7], v92 offset:14256
	v_mul_f64 v[52:53], v[134:135], v[10:11]
	v_fmac_f64_e32 v[52:53], v[132:133], v[8:9]
	v_accvgpr_read_b32 v8, a68
	v_accvgpr_read_b32 v10, a70
	;; [unrolled: 1-line block ×4, first 2 shown]
	s_waitcnt lgkmcnt(1)
	v_mul_f64 v[34:35], v[10:11], v[2:3]
	v_fmac_f64_e32 v[34:35], v[8:9], v[0:1]
	v_mul_f64 v[0:1], v[10:11], v[0:1]
	v_fma_f64 v[40:41], v[8:9], v[2:3], -v[0:1]
	ds_read_b128 v[0:3], v92 offset:22176
	ds_read_b128 v[8:11], v92 offset:23760
	s_waitcnt lgkmcnt(2)
	v_mul_f64 v[24:25], v[14:15], v[6:7]
	v_fmac_f64_e32 v[24:25], v[12:13], v[4:5]
	v_accvgpr_read_b32 v76, a116
	s_waitcnt lgkmcnt(1)
	v_mul_f64 v[44:45], v[142:143], v[2:3]
	v_fmac_f64_e32 v[44:45], v[140:141], v[0:1]
	v_mul_f64 v[0:1], v[142:143], v[0:1]
	v_fma_f64 v[46:47], v[140:141], v[2:3], -v[0:1]
	v_mul_f64 v[0:1], v[14:15], v[4:5]
	v_accvgpr_read_b32 v2, a72
	v_accvgpr_read_b32 v4, a74
	;; [unrolled: 1-line block ×3, first 2 shown]
	v_fma_f64 v[28:29], v[12:13], v[6:7], -v[0:1]
	v_accvgpr_read_b32 v3, a73
	s_waitcnt lgkmcnt(0)
	v_mul_f64 v[30:31], v[4:5], v[10:11]
	v_mul_f64 v[0:1], v[4:5], v[8:9]
	v_fmac_f64_e32 v[30:31], v[2:3], v[8:9]
	v_fma_f64 v[38:39], v[2:3], v[10:11], -v[0:1]
	ds_read_b128 v[0:3], v92 offset:15840
	ds_read_b128 v[4:7], v92 offset:17424
	v_accvgpr_read_b32 v8, a84
	v_accvgpr_read_b32 v10, a86
	;; [unrolled: 1-line block ×4, first 2 shown]
	s_waitcnt lgkmcnt(1)
	v_mul_f64 v[26:27], v[10:11], v[2:3]
	v_fmac_f64_e32 v[26:27], v[8:9], v[0:1]
	v_mul_f64 v[0:1], v[10:11], v[0:1]
	v_fma_f64 v[32:33], v[8:9], v[2:3], -v[0:1]
	ds_read_b128 v[0:3], v92 offset:25344
	ds_read_b128 v[8:11], v92 offset:26928
	v_accvgpr_read_b32 v12, a80
	v_accvgpr_read_b32 v14, a82
	;; [unrolled: 1-line block ×4, first 2 shown]
	s_waitcnt lgkmcnt(1)
	v_mul_f64 v[36:37], v[14:15], v[2:3]
	v_fmac_f64_e32 v[36:37], v[12:13], v[0:1]
	v_mul_f64 v[0:1], v[14:15], v[0:1]
	v_fma_f64 v[42:43], v[12:13], v[2:3], -v[0:1]
	v_accvgpr_read_b32 v12, a92
	v_accvgpr_read_b32 v14, a94
	;; [unrolled: 1-line block ×4, first 2 shown]
	v_mul_f64 v[16:17], v[14:15], v[6:7]
	ds_read_b128 v[64:67], v92
	ds_read_b128 v[68:71], v92 offset:1584
	v_fmac_f64_e32 v[16:17], v[12:13], v[4:5]
	v_mul_f64 v[0:1], v[14:15], v[4:5]
	v_accvgpr_read_b32 v2, a88
	v_accvgpr_read_b32 v4, a90
	;; [unrolled: 1-line block ×3, first 2 shown]
	v_fma_f64 v[20:21], v[12:13], v[6:7], -v[0:1]
	v_accvgpr_read_b32 v3, a89
	s_waitcnt lgkmcnt(2)
	v_mul_f64 v[0:1], v[4:5], v[8:9]
	v_fma_f64 v[22:23], v[2:3], v[10:11], -v[0:1]
	s_waitcnt lgkmcnt(1)
	v_add_f64 v[0:1], v[64:65], v[56:57]
	v_add_f64 v[72:73], v[0:1], v[60:61]
	;; [unrolled: 1-line block ×3, first 2 shown]
	v_mul_f64 v[18:19], v[4:5], v[10:11]
	v_add_f64 v[74:75], v[0:1], v[62:63]
	v_fmac_f64_e32 v[18:19], v[2:3], v[8:9]
	ds_read_b128 v[12:15], v92 offset:3168
	ds_read_b128 v[8:11], v92 offset:4752
	;; [unrolled: 1-line block ×4, first 2 shown]
	s_waitcnt lgkmcnt(0)
	s_barrier
	ds_write_b128 v76, v[72:75]
	v_add_f64 v[72:73], v[56:57], v[60:61]
	v_fmac_f64_e32 v[64:65], -0.5, v[72:73]
	v_add_f64 v[72:73], v[58:59], -v[62:63]
	v_add_f64 v[58:59], v[58:59], v[62:63]
	s_mov_b32 s0, 0xe8584caa
	v_fmac_f64_e32 v[66:67], -0.5, v[58:59]
	v_add_f64 v[60:61], v[56:57], -v[60:61]
	s_mov_b32 s1, 0xbfebb67a
	s_mov_b32 s9, 0x3febb67a
	;; [unrolled: 1-line block ×3, first 2 shown]
	v_fma_f64 v[56:57], s[0:1], v[72:73], v[64:65]
	v_fma_f64 v[58:59], s[8:9], v[60:61], v[66:67]
	ds_write_b128 v76, v[56:59] offset:176
	v_add_f64 v[56:57], v[68:69], v[48:49]
	v_add_f64 v[58:59], v[70:71], v[50:51]
	v_fmac_f64_e32 v[64:65], s[8:9], v[72:73]
	v_fmac_f64_e32 v[66:67], s[0:1], v[60:61]
	v_add_f64 v[56:57], v[56:57], v[52:53]
	v_add_f64 v[58:59], v[58:59], v[54:55]
	v_accvgpr_read_b32 v60, a99
	ds_write_b128 v76, v[64:67] offset:352
	ds_write_b128 v60, v[56:59]
	v_add_f64 v[56:57], v[48:49], v[52:53]
	v_fmac_f64_e32 v[68:69], -0.5, v[56:57]
	v_add_f64 v[56:57], v[50:51], -v[54:55]
	v_add_f64 v[50:51], v[50:51], v[54:55]
	v_fmac_f64_e32 v[70:71], -0.5, v[50:51]
	v_add_f64 v[52:53], v[48:49], -v[52:53]
	v_fma_f64 v[48:49], s[0:1], v[56:57], v[68:69]
	v_fma_f64 v[50:51], s[8:9], v[52:53], v[70:71]
	ds_write_b128 v60, v[48:51] offset:176
	v_add_f64 v[48:49], v[12:13], v[34:35]
	v_add_f64 v[50:51], v[14:15], v[40:41]
	v_fmac_f64_e32 v[68:69], s[8:9], v[56:57]
	v_fmac_f64_e32 v[70:71], s[0:1], v[52:53]
	v_add_f64 v[48:49], v[48:49], v[44:45]
	v_add_f64 v[50:51], v[50:51], v[46:47]
	v_accvgpr_read_b32 v52, a98
	ds_write_b128 v60, v[68:71] offset:352
	ds_write_b128 v52, v[48:51]
	v_add_f64 v[48:49], v[34:35], v[44:45]
	v_fmac_f64_e32 v[12:13], -0.5, v[48:49]
	v_add_f64 v[48:49], v[40:41], -v[46:47]
	v_add_f64 v[40:41], v[40:41], v[46:47]
	v_fmac_f64_e32 v[14:15], -0.5, v[40:41]
	v_add_f64 v[34:35], v[34:35], -v[44:45]
	v_fma_f64 v[46:47], s[8:9], v[34:35], v[14:15]
	v_fmac_f64_e32 v[14:15], s[0:1], v[34:35]
	v_add_f64 v[34:35], v[8:9], v[24:25]
	v_add_f64 v[40:41], v[24:25], v[30:31]
	v_fma_f64 v[44:45], s[0:1], v[48:49], v[12:13]
	v_fmac_f64_e32 v[12:13], s[8:9], v[48:49]
	v_fmac_f64_e32 v[8:9], -0.5, v[40:41]
	v_add_f64 v[40:41], v[28:29], -v[38:39]
	v_add_f64 v[48:49], v[34:35], v[30:31]
	v_add_f64 v[34:35], v[10:11], v[28:29]
	;; [unrolled: 1-line block ×3, first 2 shown]
	v_fmac_f64_e32 v[10:11], -0.5, v[28:29]
	v_add_f64 v[24:25], v[24:25], -v[30:31]
	ds_write_b128 v52, v[44:47] offset:176
	v_fma_f64 v[46:47], s[8:9], v[24:25], v[10:11]
	v_fmac_f64_e32 v[10:11], s[0:1], v[24:25]
	v_add_f64 v[24:25], v[4:5], v[26:27]
	v_add_f64 v[28:29], v[26:27], v[36:37]
	;; [unrolled: 1-line block ×3, first 2 shown]
	v_fmac_f64_e32 v[4:5], -0.5, v[28:29]
	v_add_f64 v[28:29], v[32:33], -v[42:43]
	v_add_f64 v[38:39], v[24:25], v[36:37]
	v_add_f64 v[24:25], v[6:7], v[32:33]
	ds_write_b128 v52, v[12:15] offset:352
	v_add_f64 v[14:15], v[0:1], v[16:17]
	v_fma_f64 v[44:45], s[0:1], v[40:41], v[8:9]
	v_fmac_f64_e32 v[8:9], s[8:9], v[40:41]
	v_fma_f64 v[30:31], s[0:1], v[28:29], v[4:5]
	v_fmac_f64_e32 v[4:5], s[8:9], v[28:29]
	v_add_f64 v[40:41], v[24:25], v[42:43]
	v_add_f64 v[24:25], v[32:33], v[42:43]
	v_accvgpr_read_b32 v29, a3
	v_add_f64 v[34:35], v[14:15], v[18:19]
	v_add_f64 v[14:15], v[2:3], v[20:21]
	v_fmac_f64_e32 v[6:7], -0.5, v[24:25]
	v_add_f64 v[24:25], v[26:27], -v[36:37]
	v_add_f64 v[12:13], v[16:17], v[18:19]
	ds_write_b128 v29, v[48:51]
	v_add_f64 v[36:37], v[14:15], v[22:23]
	v_add_f64 v[14:15], v[20:21], v[22:23]
	ds_write_b128 v29, v[44:47] offset:176
	ds_write_b128 v29, v[8:11] offset:352
	v_accvgpr_read_b32 v8, a96
	v_fma_f64 v[32:33], s[8:9], v[24:25], v[6:7]
	v_fmac_f64_e32 v[6:7], s[0:1], v[24:25]
	v_fmac_f64_e32 v[0:1], -0.5, v[12:13]
	v_add_f64 v[24:25], v[20:21], -v[22:23]
	v_fmac_f64_e32 v[2:3], -0.5, v[14:15]
	v_add_f64 v[16:17], v[16:17], -v[18:19]
	ds_write_b128 v8, v[38:41]
	ds_write_b128 v8, v[30:33] offset:176
	ds_write_b128 v8, v[4:7] offset:352
	v_accvgpr_read_b32 v38, a104
	v_fma_f64 v[12:13], s[0:1], v[24:25], v[0:1]
	v_fmac_f64_e32 v[0:1], s[8:9], v[24:25]
	v_fma_f64 v[14:15], s[8:9], v[16:17], v[2:3]
	v_fmac_f64_e32 v[2:3], s[0:1], v[16:17]
	v_accvgpr_read_b32 v4, a97
	v_accvgpr_read_b32 v40, a106
	;; [unrolled: 1-line block ×3, first 2 shown]
	ds_write_b128 v4, v[34:37]
	ds_write_b128 v4, v[12:15] offset:176
	ds_write_b128 v4, v[0:3] offset:352
	s_waitcnt lgkmcnt(0)
	s_barrier
	ds_read_b128 v[0:3], v92
	ds_read_b128 v[8:11], v92 offset:1584
	ds_read_b128 v[16:19], v92 offset:9504
	;; [unrolled: 1-line block ×7, first 2 shown]
	v_accvgpr_read_b32 v39, a105
	s_waitcnt lgkmcnt(5)
	v_mul_f64 v[42:43], v[40:41], v[18:19]
	v_fmac_f64_e32 v[42:43], v[38:39], v[16:17]
	v_mul_f64 v[16:17], v[40:41], v[16:17]
	v_fma_f64 v[44:45], v[38:39], v[18:19], -v[16:17]
	v_accvgpr_read_b32 v38, a112
	v_accvgpr_read_b32 v40, a114
	v_accvgpr_read_b32 v41, a115
	v_accvgpr_read_b32 v39, a113
	s_waitcnt lgkmcnt(4)
	v_mul_f64 v[50:51], v[40:41], v[22:23]
	v_fmac_f64_e32 v[50:51], v[38:39], v[20:21]
	v_mul_f64 v[20:21], v[40:41], v[20:21]
	s_waitcnt lgkmcnt(3)
	v_mul_f64 v[46:47], v[122:123], v[32:33]
	v_mul_f64 v[16:17], v[122:123], v[30:31]
	v_fma_f64 v[52:53], v[38:39], v[22:23], -v[20:21]
	v_accvgpr_read_b32 v38, a108
	v_fmac_f64_e32 v[46:47], v[120:121], v[30:31]
	v_fma_f64 v[48:49], v[120:121], v[32:33], -v[16:17]
	ds_read_b128 v[16:19], v92 offset:12672
	ds_read_b128 v[30:33], v92 offset:14256
	v_accvgpr_read_b32 v40, a110
	v_accvgpr_read_b32 v41, a111
	;; [unrolled: 1-line block ×3, first 2 shown]
	s_waitcnt lgkmcnt(4)
	v_mul_f64 v[54:55], v[40:41], v[36:37]
	v_mul_f64 v[20:21], v[40:41], v[34:35]
	v_fmac_f64_e32 v[54:55], v[38:39], v[34:35]
	v_fma_f64 v[56:57], v[38:39], v[36:37], -v[20:21]
	v_accvgpr_read_b32 v38, a122
	v_accvgpr_read_b32 v40, a124
	v_accvgpr_read_b32 v41, a125
	ds_read_b128 v[20:23], v92 offset:22176
	ds_read_b128 v[34:37], v92 offset:23760
	v_accvgpr_read_b32 v39, a123
	s_waitcnt lgkmcnt(3)
	v_mul_f64 v[58:59], v[40:41], v[18:19]
	v_fmac_f64_e32 v[58:59], v[38:39], v[16:17]
	v_mul_f64 v[16:17], v[40:41], v[16:17]
	v_fma_f64 v[60:61], v[38:39], v[18:19], -v[16:17]
	v_accvgpr_read_b32 v38, a118
	v_accvgpr_read_b32 v40, a120
	;; [unrolled: 1-line block ×5, first 2 shown]
	s_waitcnt lgkmcnt(1)
	v_mul_f64 v[62:63], v[40:41], v[22:23]
	v_accvgpr_read_b32 v70, a132
	v_accvgpr_read_b32 v71, a133
	v_fmac_f64_e32 v[62:63], v[38:39], v[20:21]
	v_mul_f64 v[16:17], v[40:41], v[20:21]
	v_accvgpr_read_b32 v69, a131
	v_mul_f64 v[66:67], v[70:71], v[32:33]
	v_mul_f64 v[20:21], v[70:71], v[30:31]
	v_fmac_f64_e32 v[66:67], v[68:69], v[30:31]
	v_fma_f64 v[68:69], v[68:69], v[32:33], -v[20:21]
	v_accvgpr_read_b32 v30, a126
	v_accvgpr_read_b32 v32, a128
	;; [unrolled: 1-line block ×4, first 2 shown]
	s_waitcnt lgkmcnt(0)
	v_mul_f64 v[70:71], v[32:33], v[36:37]
	v_mul_f64 v[20:21], v[32:33], v[34:35]
	v_fma_f64 v[64:65], v[38:39], v[22:23], -v[16:17]
	ds_read_b128 v[16:19], v92 offset:15840
	ds_read_b128 v[38:41], v92 offset:17424
	v_fmac_f64_e32 v[70:71], v[30:31], v[34:35]
	v_fma_f64 v[72:73], v[30:31], v[36:37], -v[20:21]
	ds_read_b128 v[20:23], v92 offset:25344
	ds_read_b128 v[30:33], v92 offset:26928
	s_waitcnt lgkmcnt(3)
	v_mul_f64 v[74:75], v[146:147], v[18:19]
	v_accvgpr_read_b32 v34, a134
	v_fmac_f64_e32 v[74:75], v[144:145], v[16:17]
	v_mul_f64 v[16:17], v[146:147], v[16:17]
	s_waitcnt lgkmcnt(0)
	v_mul_f64 v[86:87], v[150:151], v[32:33]
	v_accvgpr_read_b32 v36, a136
	v_accvgpr_read_b32 v37, a137
	v_fmac_f64_e32 v[86:87], v[148:149], v[30:31]
	v_mul_f64 v[30:31], v[150:151], v[30:31]
	v_fma_f64 v[76:77], v[144:145], v[18:19], -v[16:17]
	v_accvgpr_read_b32 v35, a135
	v_mul_f64 v[78:79], v[36:37], v[22:23]
	v_mul_f64 v[16:17], v[36:37], v[20:21]
	v_fma_f64 v[88:89], v[148:149], v[32:33], -v[30:31]
	v_add_f64 v[32:33], v[42:43], v[46:47]
	v_fmac_f64_e32 v[78:79], v[34:35], v[20:21]
	v_fma_f64 v[80:81], v[34:35], v[22:23], -v[16:17]
	v_mul_f64 v[82:83], v[154:155], v[40:41]
	v_mul_f64 v[34:35], v[154:155], v[38:39]
	v_add_f64 v[30:31], v[0:1], v[42:43]
	v_fmac_f64_e32 v[0:1], -0.5, v[32:33]
	v_add_f64 v[32:33], v[44:45], -v[48:49]
	v_add_f64 v[36:37], v[44:45], v[48:49]
	v_fmac_f64_e32 v[82:83], v[152:153], v[38:39]
	v_fma_f64 v[84:85], v[152:153], v[40:41], -v[34:35]
	v_fma_f64 v[34:35], s[0:1], v[32:33], v[0:1]
	v_fmac_f64_e32 v[0:1], s[8:9], v[32:33]
	v_add_f64 v[32:33], v[2:3], v[44:45]
	v_fmac_f64_e32 v[2:3], -0.5, v[36:37]
	v_add_f64 v[38:39], v[42:43], -v[46:47]
	v_add_f64 v[40:41], v[50:51], v[54:55]
	v_fma_f64 v[36:37], s[8:9], v[38:39], v[2:3]
	v_fmac_f64_e32 v[2:3], s[0:1], v[38:39]
	v_add_f64 v[38:39], v[8:9], v[50:51]
	v_fmac_f64_e32 v[8:9], -0.5, v[40:41]
	v_add_f64 v[40:41], v[52:53], -v[56:57]
	v_add_f64 v[44:45], v[52:53], v[56:57]
	v_add_f64 v[30:31], v[30:31], v[46:47]
	v_add_f64 v[32:33], v[32:33], v[48:49]
	v_fma_f64 v[42:43], s[0:1], v[40:41], v[8:9]
	v_fmac_f64_e32 v[8:9], s[8:9], v[40:41]
	v_add_f64 v[40:41], v[10:11], v[52:53]
	v_fmac_f64_e32 v[10:11], -0.5, v[44:45]
	v_add_f64 v[46:47], v[50:51], -v[54:55]
	v_add_f64 v[48:49], v[58:59], v[62:63]
	ds_read_b128 v[20:23], v92 offset:6336
	ds_read_b128 v[16:19], v92 offset:7920
	v_fma_f64 v[44:45], s[8:9], v[46:47], v[10:11]
	v_fmac_f64_e32 v[10:11], s[0:1], v[46:47]
	v_add_f64 v[46:47], v[12:13], v[58:59]
	v_fmac_f64_e32 v[12:13], -0.5, v[48:49]
	v_add_f64 v[48:49], v[60:61], -v[64:65]
	v_add_f64 v[52:53], v[60:61], v[64:65]
	v_add_f64 v[38:39], v[38:39], v[54:55]
	;; [unrolled: 1-line block ×3, first 2 shown]
	v_fma_f64 v[50:51], s[0:1], v[48:49], v[12:13]
	v_fmac_f64_e32 v[12:13], s[8:9], v[48:49]
	v_add_f64 v[48:49], v[14:15], v[60:61]
	v_fmac_f64_e32 v[14:15], -0.5, v[52:53]
	v_add_f64 v[54:55], v[58:59], -v[62:63]
	v_add_f64 v[56:57], v[66:67], v[70:71]
	v_fma_f64 v[52:53], s[8:9], v[54:55], v[14:15]
	v_fmac_f64_e32 v[14:15], s[0:1], v[54:55]
	v_add_f64 v[54:55], v[4:5], v[66:67]
	v_fmac_f64_e32 v[4:5], -0.5, v[56:57]
	v_add_f64 v[56:57], v[68:69], -v[72:73]
	v_add_f64 v[60:61], v[68:69], v[72:73]
	v_add_f64 v[46:47], v[46:47], v[62:63]
	;; [unrolled: 1-line block ×3, first 2 shown]
	v_fma_f64 v[58:59], s[0:1], v[56:57], v[4:5]
	v_fmac_f64_e32 v[4:5], s[8:9], v[56:57]
	v_add_f64 v[56:57], v[6:7], v[68:69]
	v_fmac_f64_e32 v[6:7], -0.5, v[60:61]
	v_add_f64 v[62:63], v[66:67], -v[70:71]
	v_add_f64 v[64:65], v[74:75], v[78:79]
	v_fma_f64 v[60:61], s[8:9], v[62:63], v[6:7]
	v_fmac_f64_e32 v[6:7], s[0:1], v[62:63]
	s_waitcnt lgkmcnt(1)
	v_add_f64 v[62:63], v[20:21], v[74:75]
	v_fmac_f64_e32 v[20:21], -0.5, v[64:65]
	v_add_f64 v[64:65], v[76:77], -v[80:81]
	v_add_f64 v[68:69], v[76:77], v[80:81]
	v_add_f64 v[54:55], v[54:55], v[70:71]
	;; [unrolled: 1-line block ×3, first 2 shown]
	v_fma_f64 v[66:67], s[0:1], v[64:65], v[20:21]
	v_fmac_f64_e32 v[20:21], s[8:9], v[64:65]
	v_add_f64 v[64:65], v[22:23], v[76:77]
	v_fmac_f64_e32 v[22:23], -0.5, v[68:69]
	v_add_f64 v[70:71], v[74:75], -v[78:79]
	v_add_f64 v[72:73], v[82:83], v[86:87]
	v_fma_f64 v[68:69], s[8:9], v[70:71], v[22:23]
	v_fmac_f64_e32 v[22:23], s[0:1], v[70:71]
	s_waitcnt lgkmcnt(0)
	v_add_f64 v[70:71], v[16:17], v[82:83]
	v_fmac_f64_e32 v[16:17], -0.5, v[72:73]
	v_add_f64 v[72:73], v[84:85], -v[88:89]
	v_add_f64 v[76:77], v[84:85], v[88:89]
	s_barrier
	ds_write_b128 v116, v[30:33]
	ds_write_b128 v116, v[34:37] offset:528
	ds_write_b128 v116, v[0:3] offset:1056
	ds_write_b128 v117, v[38:41]
	ds_write_b128 v117, v[42:45] offset:528
	ds_write_b128 v117, v[8:11] offset:1056
	;; [unrolled: 3-line block ×3, first 2 shown]
	v_accvgpr_read_b32 v0, a139
	v_add_f64 v[62:63], v[62:63], v[78:79]
	v_add_f64 v[64:65], v[64:65], v[80:81]
	v_fma_f64 v[74:75], s[0:1], v[72:73], v[16:17]
	v_fmac_f64_e32 v[16:17], s[8:9], v[72:73]
	v_add_f64 v[72:73], v[18:19], v[84:85]
	v_fmac_f64_e32 v[18:19], -0.5, v[76:77]
	v_add_f64 v[78:79], v[82:83], -v[86:87]
	ds_write_b128 v0, v[54:57]
	ds_write_b128 v0, v[58:61] offset:528
	ds_write_b128 v0, v[4:7] offset:1056
	v_accvgpr_read_b32 v0, a140
	v_add_f64 v[70:71], v[70:71], v[86:87]
	v_add_f64 v[72:73], v[72:73], v[88:89]
	v_fma_f64 v[76:77], s[8:9], v[78:79], v[18:19]
	v_fmac_f64_e32 v[18:19], s[0:1], v[78:79]
	ds_write_b128 v0, v[62:65]
	ds_write_b128 v0, v[66:69] offset:528
	ds_write_b128 v0, v[20:23] offset:1056
	v_accvgpr_read_b32 v0, a141
	ds_write_b128 v0, v[70:73]
	ds_write_b128 v0, v[74:77] offset:528
	ds_write_b128 v0, v[16:19] offset:1056
	s_waitcnt lgkmcnt(0)
	s_barrier
	ds_read_b128 v[0:3], v92
	ds_read_b128 v[4:7], v92 offset:1584
	ds_read_b128 v[30:33], v92 offset:9504
	;; [unrolled: 1-line block ×17, first 2 shown]
	s_waitcnt lgkmcnt(14)
	v_mul_f64 v[78:79], v[162:163], v[32:33]
	v_fmac_f64_e32 v[78:79], v[160:161], v[30:31]
	v_mul_f64 v[30:31], v[162:163], v[30:31]
	v_fma_f64 v[80:81], v[160:161], v[32:33], -v[30:31]
	s_waitcnt lgkmcnt(13)
	v_mul_f64 v[82:83], v[158:159], v[40:41]
	v_mul_f64 v[30:31], v[158:159], v[38:39]
	v_fmac_f64_e32 v[82:83], v[156:157], v[38:39]
	v_fma_f64 v[38:39], v[156:157], v[40:41], -v[30:31]
	v_mul_f64 v[30:31], v[162:163], v[34:35]
	v_fma_f64 v[86:87], v[160:161], v[36:37], -v[30:31]
	s_waitcnt lgkmcnt(12)
	v_mul_f64 v[30:31], v[158:159], v[42:43]
	v_mul_f64 v[88:89], v[158:159], v[44:45]
	v_fma_f64 v[44:45], v[156:157], v[44:45], -v[30:31]
	s_waitcnt lgkmcnt(9)
	v_mul_f64 v[30:31], v[170:171], v[46:47]
	v_fma_f64 v[96:97], v[168:169], v[48:49], -v[30:31]
	s_waitcnt lgkmcnt(7)
	v_mul_f64 v[98:99], v[166:167], v[56:57]
	v_mul_f64 v[30:31], v[166:167], v[54:55]
	v_fmac_f64_e32 v[98:99], v[164:165], v[54:55]
	v_fma_f64 v[54:55], v[164:165], v[56:57], -v[30:31]
	v_mul_f64 v[30:31], v[178:179], v[50:51]
	v_fma_f64 v[102:103], v[176:177], v[52:53], -v[30:31]
	s_waitcnt lgkmcnt(6)
	v_mul_f64 v[30:31], v[174:175], v[58:59]
	v_mul_f64 v[104:105], v[174:175], v[60:61]
	v_fma_f64 v[60:61], v[172:173], v[60:61], -v[30:31]
	s_waitcnt lgkmcnt(3)
	v_mul_f64 v[30:31], v[186:187], v[62:63]
	v_fma_f64 v[108:109], v[184:185], v[64:65], -v[30:31]
	s_waitcnt lgkmcnt(1)
	v_mul_f64 v[110:111], v[182:183], v[72:73]
	v_mul_f64 v[30:31], v[182:183], v[70:71]
	v_fmac_f64_e32 v[110:111], v[180:181], v[70:71]
	v_fma_f64 v[70:71], v[180:181], v[72:73], -v[30:31]
	v_mul_f64 v[30:31], v[194:195], v[66:67]
	v_fma_f64 v[114:115], v[192:193], v[68:69], -v[30:31]
	s_waitcnt lgkmcnt(0)
	v_mul_f64 v[30:31], v[190:191], v[74:75]
	v_add_f64 v[32:33], v[78:79], v[82:83]
	v_mul_f64 v[84:85], v[162:163], v[36:37]
	v_mul_f64 v[116:117], v[190:191], v[76:77]
	v_fma_f64 v[76:77], v[188:189], v[76:77], -v[30:31]
	v_add_f64 v[30:31], v[0:1], v[78:79]
	v_fmac_f64_e32 v[0:1], -0.5, v[32:33]
	v_add_f64 v[32:33], v[80:81], -v[38:39]
	v_fmac_f64_e32 v[84:85], v[160:161], v[34:35]
	v_fmac_f64_e32 v[88:89], v[156:157], v[42:43]
	v_fma_f64 v[34:35], s[0:1], v[32:33], v[0:1]
	v_fmac_f64_e32 v[0:1], s[8:9], v[32:33]
	v_add_f64 v[32:33], v[2:3], v[80:81]
	v_add_f64 v[36:37], v[80:81], v[38:39]
	v_add_f64 v[32:33], v[32:33], v[38:39]
	v_fmac_f64_e32 v[2:3], -0.5, v[36:37]
	v_add_f64 v[38:39], v[78:79], -v[82:83]
	v_add_f64 v[40:41], v[84:85], v[88:89]
	v_fma_f64 v[36:37], s[8:9], v[38:39], v[2:3]
	v_fmac_f64_e32 v[2:3], s[0:1], v[38:39]
	v_add_f64 v[38:39], v[4:5], v[84:85]
	v_fmac_f64_e32 v[4:5], -0.5, v[40:41]
	v_add_f64 v[40:41], v[86:87], -v[44:45]
	v_mul_f64 v[90:91], v[170:171], v[48:49]
	v_fma_f64 v[42:43], s[0:1], v[40:41], v[4:5]
	v_fmac_f64_e32 v[4:5], s[8:9], v[40:41]
	v_add_f64 v[40:41], v[6:7], v[86:87]
	v_fmac_f64_e32 v[90:91], v[168:169], v[46:47]
	v_add_f64 v[40:41], v[40:41], v[44:45]
	v_add_f64 v[44:45], v[86:87], v[44:45]
	v_fmac_f64_e32 v[6:7], -0.5, v[44:45]
	v_add_f64 v[46:47], v[84:85], -v[88:89]
	v_add_f64 v[48:49], v[90:91], v[98:99]
	v_mul_f64 v[100:101], v[178:179], v[52:53]
	v_fma_f64 v[44:45], s[8:9], v[46:47], v[6:7]
	v_fmac_f64_e32 v[6:7], s[0:1], v[46:47]
	v_add_f64 v[46:47], v[8:9], v[90:91]
	v_fmac_f64_e32 v[8:9], -0.5, v[48:49]
	v_add_f64 v[48:49], v[96:97], -v[54:55]
	v_fmac_f64_e32 v[100:101], v[176:177], v[50:51]
	v_fmac_f64_e32 v[104:105], v[172:173], v[58:59]
	v_fma_f64 v[50:51], s[0:1], v[48:49], v[8:9]
	v_fmac_f64_e32 v[8:9], s[8:9], v[48:49]
	v_add_f64 v[48:49], v[10:11], v[96:97]
	v_add_f64 v[52:53], v[96:97], v[54:55]
	v_add_f64 v[48:49], v[48:49], v[54:55]
	v_fmac_f64_e32 v[10:11], -0.5, v[52:53]
	v_add_f64 v[54:55], v[90:91], -v[98:99]
	v_add_f64 v[56:57], v[100:101], v[104:105]
	v_fma_f64 v[52:53], s[8:9], v[54:55], v[10:11]
	v_fmac_f64_e32 v[10:11], s[0:1], v[54:55]
	v_add_f64 v[54:55], v[12:13], v[100:101]
	v_fmac_f64_e32 v[12:13], -0.5, v[56:57]
	v_add_f64 v[56:57], v[102:103], -v[60:61]
	v_mul_f64 v[106:107], v[186:187], v[64:65]
	v_fma_f64 v[58:59], s[0:1], v[56:57], v[12:13]
	v_fmac_f64_e32 v[12:13], s[8:9], v[56:57]
	v_add_f64 v[56:57], v[14:15], v[102:103]
	v_fmac_f64_e32 v[106:107], v[184:185], v[62:63]
	v_add_f64 v[56:57], v[56:57], v[60:61]
	v_add_f64 v[60:61], v[102:103], v[60:61]
	v_fmac_f64_e32 v[14:15], -0.5, v[60:61]
	v_add_f64 v[62:63], v[100:101], -v[104:105]
	v_add_f64 v[64:65], v[106:107], v[110:111]
	v_mul_f64 v[112:113], v[194:195], v[68:69]
	v_fma_f64 v[60:61], s[8:9], v[62:63], v[14:15]
	v_fmac_f64_e32 v[14:15], s[0:1], v[62:63]
	v_add_f64 v[62:63], v[16:17], v[106:107]
	v_fmac_f64_e32 v[16:17], -0.5, v[64:65]
	v_add_f64 v[64:65], v[108:109], -v[70:71]
	v_fmac_f64_e32 v[112:113], v[192:193], v[66:67]
	v_fmac_f64_e32 v[116:117], v[188:189], v[74:75]
	v_fma_f64 v[66:67], s[0:1], v[64:65], v[16:17]
	v_fmac_f64_e32 v[16:17], s[8:9], v[64:65]
	v_add_f64 v[64:65], v[18:19], v[108:109]
	v_add_f64 v[68:69], v[108:109], v[70:71]
	;; [unrolled: 1-line block ×3, first 2 shown]
	v_fmac_f64_e32 v[18:19], -0.5, v[68:69]
	v_add_f64 v[70:71], v[106:107], -v[110:111]
	v_add_f64 v[72:73], v[112:113], v[116:117]
	v_add_f64 v[30:31], v[30:31], v[82:83]
	v_fma_f64 v[68:69], s[8:9], v[70:71], v[18:19]
	v_fmac_f64_e32 v[18:19], s[0:1], v[70:71]
	v_add_f64 v[70:71], v[20:21], v[112:113]
	v_fmac_f64_e32 v[20:21], -0.5, v[72:73]
	v_add_f64 v[72:73], v[114:115], -v[76:77]
	v_add_f64 v[38:39], v[38:39], v[88:89]
	v_add_f64 v[46:47], v[46:47], v[98:99]
	v_fma_f64 v[74:75], s[0:1], v[72:73], v[20:21]
	v_fmac_f64_e32 v[20:21], s[8:9], v[72:73]
	v_add_f64 v[72:73], v[22:23], v[114:115]
	s_barrier
	ds_write_b128 v92, v[30:33]
	ds_write_b128 v92, v[34:37] offset:1584
	ds_write_b128 v92, v[0:3] offset:3168
	;; [unrolled: 1-line block ×5, first 2 shown]
	v_accvgpr_read_b32 v0, a142
	v_add_f64 v[54:55], v[54:55], v[104:105]
	v_add_f64 v[72:73], v[72:73], v[76:77]
	;; [unrolled: 1-line block ×3, first 2 shown]
	ds_write_b128 v0, v[46:49] offset:9504
	ds_write_b128 v0, v[50:53] offset:11088
	;; [unrolled: 1-line block ×3, first 2 shown]
	v_accvgpr_read_b32 v0, a143
	v_add_f64 v[62:63], v[62:63], v[110:111]
	v_fmac_f64_e32 v[22:23], -0.5, v[76:77]
	v_add_f64 v[78:79], v[112:113], -v[116:117]
	ds_write_b128 v0, v[54:57] offset:14256
	ds_write_b128 v0, v[58:61] offset:15840
	;; [unrolled: 1-line block ×3, first 2 shown]
	v_accvgpr_read_b32 v0, a144
	v_add_f64 v[70:71], v[70:71], v[116:117]
	v_fma_f64 v[76:77], s[8:9], v[78:79], v[22:23]
	v_fmac_f64_e32 v[22:23], s[0:1], v[78:79]
	ds_write_b128 v0, v[62:65] offset:19008
	ds_write_b128 v0, v[66:69] offset:20592
	ds_write_b128 v0, v[16:19] offset:22176
	v_accvgpr_read_b32 v0, a145
	ds_write_b128 v0, v[70:73] offset:23760
	ds_write_b128 v0, v[74:77] offset:25344
	;; [unrolled: 1-line block ×3, first 2 shown]
	s_waitcnt lgkmcnt(0)
	s_barrier
	ds_read_b128 v[0:3], v92
	ds_read_b128 v[4:7], v92 offset:1584
	ds_read_b128 v[30:33], v92 offset:9504
	;; [unrolled: 1-line block ×17, first 2 shown]
	s_waitcnt lgkmcnt(14)
	v_mul_f64 v[78:79], v[198:199], v[32:33]
	v_fmac_f64_e32 v[78:79], v[196:197], v[30:31]
	v_mul_f64 v[30:31], v[198:199], v[30:31]
	v_fma_f64 v[80:81], v[196:197], v[32:33], -v[30:31]
	s_waitcnt lgkmcnt(13)
	v_mul_f64 v[82:83], v[202:203], v[40:41]
	v_mul_f64 v[30:31], v[202:203], v[38:39]
	v_fmac_f64_e32 v[82:83], v[200:201], v[38:39]
	v_fma_f64 v[38:39], v[200:201], v[40:41], -v[30:31]
	v_mul_f64 v[30:31], v[206:207], v[34:35]
	v_fma_f64 v[86:87], v[204:205], v[36:37], -v[30:31]
	s_waitcnt lgkmcnt(12)
	v_mul_f64 v[30:31], v[210:211], v[42:43]
	v_mul_f64 v[88:89], v[210:211], v[44:45]
	v_fma_f64 v[44:45], v[208:209], v[44:45], -v[30:31]
	s_waitcnt lgkmcnt(9)
	v_mul_f64 v[30:31], v[214:215], v[46:47]
	v_fma_f64 v[96:97], v[212:213], v[48:49], -v[30:31]
	s_waitcnt lgkmcnt(7)
	v_mul_f64 v[98:99], v[218:219], v[56:57]
	v_mul_f64 v[30:31], v[218:219], v[54:55]
	v_fmac_f64_e32 v[98:99], v[216:217], v[54:55]
	v_fma_f64 v[54:55], v[216:217], v[56:57], -v[30:31]
	v_mul_f64 v[30:31], v[198:199], v[50:51]
	v_fma_f64 v[102:103], v[196:197], v[52:53], -v[30:31]
	s_waitcnt lgkmcnt(6)
	v_mul_f64 v[30:31], v[202:203], v[58:59]
	v_mul_f64 v[104:105], v[202:203], v[60:61]
	v_fma_f64 v[60:61], v[200:201], v[60:61], -v[30:31]
	s_waitcnt lgkmcnt(3)
	v_mul_f64 v[30:31], v[206:207], v[62:63]
	v_fma_f64 v[108:109], v[204:205], v[64:65], -v[30:31]
	s_waitcnt lgkmcnt(1)
	v_mul_f64 v[110:111], v[210:211], v[72:73]
	v_mul_f64 v[30:31], v[210:211], v[70:71]
	v_fmac_f64_e32 v[110:111], v[208:209], v[70:71]
	v_fma_f64 v[70:71], v[208:209], v[72:73], -v[30:31]
	v_mul_f64 v[30:31], v[214:215], v[66:67]
	v_fma_f64 v[114:115], v[212:213], v[68:69], -v[30:31]
	s_waitcnt lgkmcnt(0)
	v_mul_f64 v[30:31], v[218:219], v[74:75]
	v_add_f64 v[32:33], v[78:79], v[82:83]
	v_mul_f64 v[84:85], v[206:207], v[36:37]
	v_mul_f64 v[116:117], v[218:219], v[76:77]
	v_fma_f64 v[76:77], v[216:217], v[76:77], -v[30:31]
	v_add_f64 v[30:31], v[0:1], v[78:79]
	v_fmac_f64_e32 v[0:1], -0.5, v[32:33]
	v_add_f64 v[32:33], v[80:81], -v[38:39]
	v_fmac_f64_e32 v[84:85], v[204:205], v[34:35]
	v_fmac_f64_e32 v[88:89], v[208:209], v[42:43]
	v_fma_f64 v[34:35], s[0:1], v[32:33], v[0:1]
	v_fmac_f64_e32 v[0:1], s[8:9], v[32:33]
	v_add_f64 v[32:33], v[2:3], v[80:81]
	v_add_f64 v[36:37], v[80:81], v[38:39]
	;; [unrolled: 1-line block ×3, first 2 shown]
	v_fmac_f64_e32 v[2:3], -0.5, v[36:37]
	v_add_f64 v[38:39], v[78:79], -v[82:83]
	v_add_f64 v[40:41], v[84:85], v[88:89]
	v_fma_f64 v[36:37], s[8:9], v[38:39], v[2:3]
	v_fmac_f64_e32 v[2:3], s[0:1], v[38:39]
	v_add_f64 v[38:39], v[4:5], v[84:85]
	v_fmac_f64_e32 v[4:5], -0.5, v[40:41]
	v_add_f64 v[40:41], v[86:87], -v[44:45]
	v_mul_f64 v[90:91], v[214:215], v[48:49]
	v_fma_f64 v[42:43], s[0:1], v[40:41], v[4:5]
	v_fmac_f64_e32 v[4:5], s[8:9], v[40:41]
	v_add_f64 v[40:41], v[6:7], v[86:87]
	v_fmac_f64_e32 v[90:91], v[212:213], v[46:47]
	v_add_f64 v[40:41], v[40:41], v[44:45]
	v_add_f64 v[44:45], v[86:87], v[44:45]
	v_fmac_f64_e32 v[6:7], -0.5, v[44:45]
	v_add_f64 v[46:47], v[84:85], -v[88:89]
	v_add_f64 v[48:49], v[90:91], v[98:99]
	v_mul_f64 v[100:101], v[198:199], v[52:53]
	v_fma_f64 v[44:45], s[8:9], v[46:47], v[6:7]
	v_fmac_f64_e32 v[6:7], s[0:1], v[46:47]
	v_add_f64 v[46:47], v[8:9], v[90:91]
	v_fmac_f64_e32 v[8:9], -0.5, v[48:49]
	v_add_f64 v[48:49], v[96:97], -v[54:55]
	v_fmac_f64_e32 v[100:101], v[196:197], v[50:51]
	v_fmac_f64_e32 v[104:105], v[200:201], v[58:59]
	v_fma_f64 v[50:51], s[0:1], v[48:49], v[8:9]
	v_fmac_f64_e32 v[8:9], s[8:9], v[48:49]
	v_add_f64 v[48:49], v[10:11], v[96:97]
	v_add_f64 v[52:53], v[96:97], v[54:55]
	;; [unrolled: 1-line block ×3, first 2 shown]
	v_fmac_f64_e32 v[10:11], -0.5, v[52:53]
	v_add_f64 v[54:55], v[90:91], -v[98:99]
	v_add_f64 v[56:57], v[100:101], v[104:105]
	v_fma_f64 v[52:53], s[8:9], v[54:55], v[10:11]
	v_fmac_f64_e32 v[10:11], s[0:1], v[54:55]
	v_add_f64 v[54:55], v[12:13], v[100:101]
	v_fmac_f64_e32 v[12:13], -0.5, v[56:57]
	v_add_f64 v[56:57], v[102:103], -v[60:61]
	v_mul_f64 v[106:107], v[206:207], v[64:65]
	v_fma_f64 v[58:59], s[0:1], v[56:57], v[12:13]
	v_fmac_f64_e32 v[12:13], s[8:9], v[56:57]
	v_add_f64 v[56:57], v[14:15], v[102:103]
	v_fmac_f64_e32 v[106:107], v[204:205], v[62:63]
	v_add_f64 v[56:57], v[56:57], v[60:61]
	v_add_f64 v[60:61], v[102:103], v[60:61]
	v_fmac_f64_e32 v[14:15], -0.5, v[60:61]
	v_add_f64 v[62:63], v[100:101], -v[104:105]
	v_add_f64 v[64:65], v[106:107], v[110:111]
	v_mul_f64 v[112:113], v[214:215], v[68:69]
	v_fma_f64 v[60:61], s[8:9], v[62:63], v[14:15]
	v_fmac_f64_e32 v[14:15], s[0:1], v[62:63]
	v_add_f64 v[62:63], v[16:17], v[106:107]
	v_fmac_f64_e32 v[16:17], -0.5, v[64:65]
	v_add_f64 v[64:65], v[108:109], -v[70:71]
	v_fmac_f64_e32 v[112:113], v[212:213], v[66:67]
	v_fmac_f64_e32 v[116:117], v[216:217], v[74:75]
	v_fma_f64 v[66:67], s[0:1], v[64:65], v[16:17]
	v_fmac_f64_e32 v[16:17], s[8:9], v[64:65]
	v_add_f64 v[64:65], v[18:19], v[108:109]
	v_add_f64 v[68:69], v[108:109], v[70:71]
	v_add_f64 v[64:65], v[64:65], v[70:71]
	v_fmac_f64_e32 v[18:19], -0.5, v[68:69]
	v_add_f64 v[70:71], v[106:107], -v[110:111]
	v_add_f64 v[72:73], v[112:113], v[116:117]
	v_fma_f64 v[68:69], s[8:9], v[70:71], v[18:19]
	v_fmac_f64_e32 v[18:19], s[0:1], v[70:71]
	v_add_f64 v[70:71], v[20:21], v[112:113]
	v_fmac_f64_e32 v[20:21], -0.5, v[72:73]
	v_add_f64 v[72:73], v[114:115], -v[76:77]
	v_fma_f64 v[74:75], s[0:1], v[72:73], v[20:21]
	v_fmac_f64_e32 v[20:21], s[8:9], v[72:73]
	v_add_f64 v[72:73], v[22:23], v[114:115]
	v_add_f64 v[72:73], v[72:73], v[76:77]
	;; [unrolled: 1-line block ×3, first 2 shown]
	v_fmac_f64_e32 v[22:23], -0.5, v[76:77]
	v_add_f64 v[78:79], v[112:113], -v[116:117]
	v_add_f64 v[30:31], v[30:31], v[82:83]
	v_add_f64 v[38:39], v[38:39], v[88:89]
	;; [unrolled: 1-line block ×6, first 2 shown]
	v_fma_f64 v[76:77], s[8:9], v[78:79], v[22:23]
	v_fmac_f64_e32 v[22:23], s[0:1], v[78:79]
	s_barrier
	ds_write_b128 v92, v[30:33]
	ds_write_b128 v92, v[34:37] offset:4752
	ds_write_b128 v92, v[0:3] offset:9504
	ds_write_b128 v92, v[38:41] offset:1584
	ds_write_b128 v92, v[42:45] offset:6336
	ds_write_b128 v92, v[4:7] offset:11088
	ds_write_b128 v92, v[46:49] offset:3168
	ds_write_b128 v92, v[50:53] offset:7920
	ds_write_b128 v92, v[8:11] offset:12672
	ds_write_b128 v92, v[54:57] offset:14256
	ds_write_b128 v92, v[58:61] offset:19008
	ds_write_b128 v92, v[12:15] offset:23760
	ds_write_b128 v92, v[62:65] offset:15840
	ds_write_b128 v92, v[66:69] offset:20592
	ds_write_b128 v92, v[16:19] offset:25344
	ds_write_b128 v92, v[70:73] offset:17424
	ds_write_b128 v92, v[74:77] offset:22176
	ds_write_b128 v92, v[20:23] offset:26928
	s_waitcnt lgkmcnt(0)
	s_barrier
	ds_read_b128 v[0:3], v92 offset:14256
	ds_read_b128 v[4:7], v92
	ds_read_b128 v[8:11], v92 offset:1584
	ds_read_b128 v[12:15], v92 offset:15840
	ds_read_b128 v[16:19], v92 offset:17424
	ds_read_b128 v[20:23], v92 offset:3168
	ds_read_b128 v[30:33], v92 offset:4752
	ds_read_b128 v[34:37], v92 offset:19008
	ds_read_b128 v[38:41], v92 offset:20592
	ds_read_b128 v[42:45], v92 offset:6336
	ds_read_b128 v[46:49], v92 offset:7920
	ds_read_b128 v[50:53], v92 offset:22176
	ds_read_b128 v[54:57], v92 offset:23760
	ds_read_b128 v[58:61], v92 offset:9504
	ds_read_b128 v[62:65], v92 offset:11088
	ds_read_b128 v[66:69], v92 offset:12672
	ds_read_b128 v[70:73], v92 offset:25344
	ds_read_b128 v[74:77], v92 offset:26928
	s_waitcnt lgkmcnt(14)
	v_mul_f64 v[78:79], v[222:223], v[2:3]
	v_fmac_f64_e32 v[78:79], v[220:221], v[0:1]
	v_mul_f64 v[0:1], v[222:223], v[0:1]
	v_fma_f64 v[2:3], v[220:221], v[2:3], -v[0:1]
	v_mul_f64 v[0:1], v[226:227], v[12:13]
	v_mul_f64 v[80:81], v[226:227], v[14:15]
	v_fma_f64 v[14:15], v[224:225], v[14:15], -v[0:1]
	s_waitcnt lgkmcnt(13)
	v_mul_f64 v[0:1], v[230:231], v[16:17]
	v_mul_f64 v[82:83], v[230:231], v[18:19]
	v_fma_f64 v[18:19], v[228:229], v[18:19], -v[0:1]
	s_waitcnt lgkmcnt(10)
	;; [unrolled: 4-line block ×7, first 2 shown]
	v_mul_f64 v[98:99], v[254:255], v[76:77]
	v_mul_f64 v[0:1], v[254:255], v[74:75]
	v_fmac_f64_e32 v[80:81], v[224:225], v[12:13]
	v_fmac_f64_e32 v[82:83], v[228:229], v[16:17]
	;; [unrolled: 1-line block ×8, first 2 shown]
	v_fma_f64 v[76:77], v[252:253], v[76:77], -v[0:1]
	v_add_f64 v[0:1], v[4:5], -v[78:79]
	v_add_f64 v[2:3], v[6:7], -v[2:3]
	v_fma_f64 v[4:5], v[4:5], 2.0, -v[0:1]
	v_fma_f64 v[6:7], v[6:7], 2.0, -v[2:3]
	v_add_f64 v[12:13], v[8:9], -v[80:81]
	v_add_f64 v[14:15], v[10:11], -v[14:15]
	v_add_f64 v[16:17], v[20:21], -v[82:83]
	v_add_f64 v[18:19], v[22:23], -v[18:19]
	v_add_f64 v[34:35], v[30:31], -v[84:85]
	v_add_f64 v[36:37], v[32:33], -v[36:37]
	v_add_f64 v[38:39], v[42:43], -v[86:87]
	v_add_f64 v[40:41], v[44:45], -v[40:41]
	v_add_f64 v[50:51], v[46:47], -v[88:89]
	v_add_f64 v[52:53], v[48:49], -v[52:53]
	v_add_f64 v[54:55], v[58:59], -v[90:91]
	v_add_f64 v[56:57], v[60:61], -v[56:57]
	v_add_f64 v[70:71], v[62:63], -v[96:97]
	v_add_f64 v[72:73], v[64:65], -v[72:73]
	v_add_f64 v[74:75], v[66:67], -v[98:99]
	v_add_f64 v[76:77], v[68:69], -v[76:77]
	v_fma_f64 v[8:9], v[8:9], 2.0, -v[12:13]
	v_fma_f64 v[10:11], v[10:11], 2.0, -v[14:15]
	;; [unrolled: 1-line block ×16, first 2 shown]
	ds_write_b128 v92, v[4:7]
	ds_write_b128 v92, v[0:3] offset:14256
	ds_write_b128 v92, v[8:11] offset:1584
	;; [unrolled: 1-line block ×17, first 2 shown]
	s_waitcnt lgkmcnt(0)
	s_barrier
	ds_read_b128 v[0:3], v92
	v_accvgpr_read_b32 v118, a2
	v_mov_b32_e32 v24, s2
	v_mov_b32_e32 v25, s3
	v_mad_u64_u32 v[26:27], s[2:3], s6, v118, 0
	v_mov_b32_e32 v28, v27
	v_accvgpr_read_b32 v13, a7
	v_mad_u64_u32 v[4:5], s[0:1], s7, v118, v[28:29]
	v_accvgpr_read_b32 v12, a6
	v_mov_b32_e32 v27, v4
	ds_read_b128 v[4:7], v92 offset:2592
	v_accvgpr_read_b32 v11, a5
	v_accvgpr_read_b32 v10, a4
	s_waitcnt lgkmcnt(1)
	v_mul_f64 v[8:9], v[12:13], v[2:3]
	v_fmac_f64_e32 v[8:9], v[10:11], v[0:1]
	s_mov_b32 s0, 0x7210aa18
	v_mul_f64 v[0:1], v[12:13], v[0:1]
	s_mov_b32 s1, 0x3f426369
	v_fma_f64 v[0:1], v[10:11], v[2:3], -v[0:1]
	v_accvgpr_read_b32 v12, a0
	v_mul_f64 v[10:11], v[0:1], s[0:1]
	v_mad_u64_u32 v[0:1], s[2:3], s4, v12, 0
	v_mov_b32_e32 v2, v1
	v_mad_u64_u32 v[2:3], s[2:3], s5, v12, v[2:3]
	v_mov_b32_e32 v1, v2
	v_lshl_add_u64 v[2:3], v[26:27], 4, v[24:25]
	v_mul_f64 v[8:9], v[8:9], s[0:1]
	v_lshl_add_u64 v[12:13], v[0:1], 4, v[2:3]
	global_store_dwordx4 v[12:13], v[8:11], off
	s_mul_i32 s2, s5, 0xa2
	s_mul_hi_u32 s3, s4, 0xa2
	v_accvgpr_read_b32 v8, a12
	v_accvgpr_read_b32 v10, a14
	;; [unrolled: 1-line block ×4, first 2 shown]
	s_waitcnt lgkmcnt(0)
	v_mul_f64 v[0:1], v[10:11], v[6:7]
	v_mul_f64 v[2:3], v[10:11], v[4:5]
	v_fmac_f64_e32 v[0:1], v[8:9], v[4:5]
	v_fma_f64 v[2:3], v[8:9], v[6:7], -v[2:3]
	ds_read_b128 v[4:7], v92 offset:5184
	s_add_i32 s3, s3, s2
	s_mul_i32 s2, s4, 0xa2
	s_lshl_b64 s[2:3], s[2:3], 4
	v_accvgpr_read_b32 v14, a24
	v_mul_f64 v[0:1], v[0:1], s[0:1]
	v_mul_f64 v[2:3], v[2:3], s[0:1]
	v_lshl_add_u64 v[12:13], v[12:13], 0, s[2:3]
	v_accvgpr_read_b32 v16, a26
	v_accvgpr_read_b32 v17, a27
	global_store_dwordx4 v[12:13], v[0:3], off
	ds_read_b128 v[0:3], v92 offset:7776
	v_accvgpr_read_b32 v15, a25
	s_waitcnt lgkmcnt(1)
	v_mul_f64 v[8:9], v[16:17], v[6:7]
	v_fmac_f64_e32 v[8:9], v[14:15], v[4:5]
	v_mul_f64 v[4:5], v[16:17], v[4:5]
	v_fma_f64 v[4:5], v[14:15], v[6:7], -v[4:5]
	v_mul_f64 v[8:9], v[8:9], s[0:1]
	v_mul_f64 v[10:11], v[4:5], s[0:1]
	v_lshl_add_u64 v[12:13], v[12:13], 0, s[2:3]
	global_store_dwordx4 v[12:13], v[8:11], off
	v_accvgpr_read_b32 v6, a20
	v_accvgpr_read_b32 v7, a21
	;; [unrolled: 1-line block ×4, first 2 shown]
	s_waitcnt lgkmcnt(0)
	v_mul_f64 v[4:5], v[8:9], v[2:3]
	v_fmac_f64_e32 v[4:5], v[6:7], v[0:1]
	v_mul_f64 v[0:1], v[8:9], v[0:1]
	v_fma_f64 v[6:7], v[6:7], v[2:3], -v[0:1]
	ds_read_b128 v[0:3], v92 offset:10368
	v_accvgpr_read_b32 v17, a11
	v_mul_f64 v[4:5], v[4:5], s[0:1]
	v_mul_f64 v[6:7], v[6:7], s[0:1]
	v_lshl_add_u64 v[12:13], v[12:13], 0, s[2:3]
	v_accvgpr_read_b32 v16, a10
	global_store_dwordx4 v[12:13], v[4:7], off
	ds_read_b128 v[4:7], v92 offset:12960
	v_accvgpr_read_b32 v15, a9
	v_accvgpr_read_b32 v14, a8
	s_waitcnt lgkmcnt(1)
	v_mul_f64 v[8:9], v[16:17], v[2:3]
	v_fmac_f64_e32 v[8:9], v[14:15], v[0:1]
	v_mul_f64 v[0:1], v[16:17], v[0:1]
	v_fma_f64 v[0:1], v[14:15], v[2:3], -v[0:1]
	v_mul_f64 v[8:9], v[8:9], s[0:1]
	v_mul_f64 v[10:11], v[0:1], s[0:1]
	v_lshl_add_u64 v[12:13], v[12:13], 0, s[2:3]
	global_store_dwordx4 v[12:13], v[8:11], off
	v_accvgpr_read_b32 v14, a16
	v_lshl_add_u64 v[12:13], v[12:13], 0, s[2:3]
	v_accvgpr_read_b32 v8, a40
	v_accvgpr_read_b32 v10, a42
	;; [unrolled: 1-line block ×4, first 2 shown]
	s_waitcnt lgkmcnt(0)
	v_mul_f64 v[0:1], v[10:11], v[6:7]
	v_mul_f64 v[2:3], v[10:11], v[4:5]
	v_fmac_f64_e32 v[0:1], v[8:9], v[4:5]
	v_fma_f64 v[2:3], v[8:9], v[6:7], -v[2:3]
	ds_read_b128 v[4:7], v92 offset:15552
	v_mul_f64 v[0:1], v[0:1], s[0:1]
	v_mul_f64 v[2:3], v[2:3], s[0:1]
	v_accvgpr_read_b32 v16, a18
	v_accvgpr_read_b32 v17, a19
	global_store_dwordx4 v[12:13], v[0:3], off
	ds_read_b128 v[0:3], v92 offset:18144
	v_accvgpr_read_b32 v15, a17
	s_waitcnt lgkmcnt(1)
	v_mul_f64 v[8:9], v[16:17], v[6:7]
	v_fmac_f64_e32 v[8:9], v[14:15], v[4:5]
	v_mul_f64 v[4:5], v[16:17], v[4:5]
	v_fma_f64 v[4:5], v[14:15], v[6:7], -v[4:5]
	v_mul_f64 v[8:9], v[8:9], s[0:1]
	v_mul_f64 v[10:11], v[4:5], s[0:1]
	v_lshl_add_u64 v[12:13], v[12:13], 0, s[2:3]
	global_store_dwordx4 v[12:13], v[8:11], off
	v_accvgpr_read_b32 v6, a32
	v_accvgpr_read_b32 v7, a33
	;; [unrolled: 1-line block ×4, first 2 shown]
	s_waitcnt lgkmcnt(0)
	v_mul_f64 v[4:5], v[8:9], v[2:3]
	v_fmac_f64_e32 v[4:5], v[6:7], v[0:1]
	v_mul_f64 v[0:1], v[8:9], v[0:1]
	v_fma_f64 v[6:7], v[6:7], v[2:3], -v[0:1]
	ds_read_b128 v[0:3], v92 offset:20736
	v_accvgpr_read_b32 v14, a44
	v_mul_f64 v[4:5], v[4:5], s[0:1]
	v_mul_f64 v[6:7], v[6:7], s[0:1]
	v_lshl_add_u64 v[12:13], v[12:13], 0, s[2:3]
	v_accvgpr_read_b32 v16, a46
	v_accvgpr_read_b32 v17, a47
	global_store_dwordx4 v[12:13], v[4:7], off
	ds_read_b128 v[4:7], v92 offset:23328
	v_accvgpr_read_b32 v15, a45
	s_waitcnt lgkmcnt(1)
	v_mul_f64 v[8:9], v[16:17], v[2:3]
	v_fmac_f64_e32 v[8:9], v[14:15], v[0:1]
	v_mul_f64 v[0:1], v[16:17], v[0:1]
	v_fma_f64 v[0:1], v[14:15], v[2:3], -v[0:1]
	v_mul_f64 v[8:9], v[8:9], s[0:1]
	v_mul_f64 v[10:11], v[0:1], s[0:1]
	v_lshl_add_u64 v[12:13], v[12:13], 0, s[2:3]
	global_store_dwordx4 v[12:13], v[8:11], off
	v_accvgpr_read_b32 v14, a28
	ds_read_b128 v[8:11], v92 offset:25920
	v_accvgpr_read_b32 v16, a30
	v_accvgpr_read_b32 v17, a31
	;; [unrolled: 1-line block ×3, first 2 shown]
	s_waitcnt lgkmcnt(1)
	v_mul_f64 v[0:1], v[16:17], v[6:7]
	v_mul_f64 v[2:3], v[16:17], v[4:5]
	v_fmac_f64_e32 v[0:1], v[14:15], v[4:5]
	v_fma_f64 v[2:3], v[14:15], v[6:7], -v[2:3]
	v_lshl_add_u64 v[6:7], v[12:13], 0, s[2:3]
	v_accvgpr_read_b32 v12, a36
	v_mul_f64 v[0:1], v[0:1], s[0:1]
	v_mul_f64 v[2:3], v[2:3], s[0:1]
	v_accvgpr_read_b32 v14, a38
	v_accvgpr_read_b32 v15, a39
	global_store_dwordx4 v[6:7], v[0:3], off
	v_accvgpr_read_b32 v13, a37
	s_waitcnt lgkmcnt(0)
	v_mul_f64 v[0:1], v[14:15], v[10:11]
	v_fmac_f64_e32 v[0:1], v[12:13], v[8:9]
	v_mul_f64 v[2:3], v[0:1], s[0:1]
	v_mul_f64 v[0:1], v[14:15], v[8:9]
	v_fma_f64 v[0:1], v[12:13], v[10:11], -v[0:1]
	v_mul_f64 v[4:5], v[0:1], s[0:1]
	v_lshl_add_u64 v[0:1], v[6:7], 0, s[2:3]
	global_store_dwordx4 v[0:1], v[2:5], off
	s_and_b64 exec, exec, vcc
	s_cbranch_execz .LBB0_15
; %bb.14:
	global_load_dwordx4 v[2:5], v[94:95], off offset:1584
	ds_read_b128 v[6:9], v92 offset:1584
	ds_read_b128 v[10:13], v92 offset:4176
	v_mov_b32_e32 v14, 0xffffa0f0
	s_mulk_i32 s5, 0xa0f0
	v_mad_u64_u32 v[14:15], s[6:7], s4, v14, v[0:1]
	s_movk_i32 s8, 0x1000
	s_sub_i32 s4, s5, s4
	v_add_co_u32_e32 v16, vcc, s8, v94
	v_add_u32_e32 v15, s4, v15
	s_nop 0
	v_addc_co_u32_e32 v17, vcc, 0, v95, vcc
	s_movk_i32 s4, 0x2000
	s_waitcnt vmcnt(0) lgkmcnt(1)
	v_mul_f64 v[0:1], v[8:9], v[4:5]
	v_mul_f64 v[4:5], v[6:7], v[4:5]
	v_fmac_f64_e32 v[0:1], v[6:7], v[2:3]
	v_fma_f64 v[2:3], v[2:3], v[8:9], -v[4:5]
	v_mul_f64 v[0:1], v[0:1], s[0:1]
	v_mul_f64 v[2:3], v[2:3], s[0:1]
	global_store_dwordx4 v[14:15], v[0:3], off
	global_load_dwordx4 v[0:3], v[16:17], off offset:80
	v_lshl_add_u64 v[14:15], v[14:15], 0, s[2:3]
	s_waitcnt vmcnt(0) lgkmcnt(0)
	v_mul_f64 v[4:5], v[12:13], v[2:3]
	v_mul_f64 v[2:3], v[10:11], v[2:3]
	v_fmac_f64_e32 v[4:5], v[10:11], v[0:1]
	v_fma_f64 v[2:3], v[0:1], v[12:13], -v[2:3]
	v_mul_f64 v[0:1], v[4:5], s[0:1]
	v_mul_f64 v[2:3], v[2:3], s[0:1]
	global_store_dwordx4 v[14:15], v[0:3], off
	global_load_dwordx4 v[0:3], v[16:17], off offset:2672
	ds_read_b128 v[4:7], v92 offset:6768
	ds_read_b128 v[8:11], v92 offset:9360
	v_add_co_u32_e32 v12, vcc, s4, v94
	v_lshl_add_u64 v[14:15], v[14:15], 0, s[2:3]
	s_nop 0
	v_addc_co_u32_e32 v13, vcc, 0, v95, vcc
	s_movk_i32 s4, 0x3000
	s_waitcnt vmcnt(0) lgkmcnt(1)
	v_mul_f64 v[16:17], v[6:7], v[2:3]
	v_mul_f64 v[2:3], v[4:5], v[2:3]
	v_fmac_f64_e32 v[16:17], v[4:5], v[0:1]
	v_fma_f64 v[2:3], v[0:1], v[6:7], -v[2:3]
	v_mul_f64 v[0:1], v[16:17], s[0:1]
	v_mul_f64 v[2:3], v[2:3], s[0:1]
	global_store_dwordx4 v[14:15], v[0:3], off
	global_load_dwordx4 v[0:3], v[12:13], off offset:1168
	v_lshl_add_u64 v[14:15], v[14:15], 0, s[2:3]
	s_waitcnt vmcnt(0) lgkmcnt(0)
	v_mul_f64 v[4:5], v[10:11], v[2:3]
	v_mul_f64 v[2:3], v[8:9], v[2:3]
	v_fmac_f64_e32 v[4:5], v[8:9], v[0:1]
	v_fma_f64 v[2:3], v[0:1], v[10:11], -v[2:3]
	v_mul_f64 v[0:1], v[4:5], s[0:1]
	v_mul_f64 v[2:3], v[2:3], s[0:1]
	global_store_dwordx4 v[14:15], v[0:3], off
	global_load_dwordx4 v[0:3], v[12:13], off offset:3760
	ds_read_b128 v[4:7], v92 offset:11952
	ds_read_b128 v[8:11], v92 offset:14544
	v_add_co_u32_e32 v12, vcc, s4, v94
	v_lshl_add_u64 v[14:15], v[14:15], 0, s[2:3]
	s_nop 0
	v_addc_co_u32_e32 v13, vcc, 0, v95, vcc
	s_movk_i32 s4, 0x4000
	s_waitcnt vmcnt(0) lgkmcnt(1)
	v_mul_f64 v[16:17], v[6:7], v[2:3]
	v_mul_f64 v[2:3], v[4:5], v[2:3]
	v_fmac_f64_e32 v[16:17], v[4:5], v[0:1]
	v_fma_f64 v[2:3], v[0:1], v[6:7], -v[2:3]
	v_mul_f64 v[0:1], v[16:17], s[0:1]
	v_mul_f64 v[2:3], v[2:3], s[0:1]
	global_store_dwordx4 v[14:15], v[0:3], off
	global_load_dwordx4 v[0:3], v[12:13], off offset:2256
	v_add_co_u32_e32 v12, vcc, s4, v94
	v_lshl_add_u64 v[14:15], v[14:15], 0, s[2:3]
	s_nop 0
	v_addc_co_u32_e32 v13, vcc, 0, v95, vcc
	s_movk_i32 s4, 0x5000
	s_waitcnt vmcnt(0) lgkmcnt(0)
	v_mul_f64 v[4:5], v[10:11], v[2:3]
	v_mul_f64 v[2:3], v[8:9], v[2:3]
	v_fmac_f64_e32 v[4:5], v[8:9], v[0:1]
	v_fma_f64 v[2:3], v[0:1], v[10:11], -v[2:3]
	v_mul_f64 v[0:1], v[4:5], s[0:1]
	v_mul_f64 v[2:3], v[2:3], s[0:1]
	global_store_dwordx4 v[14:15], v[0:3], off
	global_load_dwordx4 v[0:3], v[12:13], off offset:752
	ds_read_b128 v[4:7], v92 offset:17136
	ds_read_b128 v[8:11], v92 offset:19728
	v_lshl_add_u64 v[14:15], v[14:15], 0, s[2:3]
	s_waitcnt vmcnt(0) lgkmcnt(1)
	v_mul_f64 v[16:17], v[6:7], v[2:3]
	v_mul_f64 v[2:3], v[4:5], v[2:3]
	v_fmac_f64_e32 v[16:17], v[4:5], v[0:1]
	v_fma_f64 v[2:3], v[0:1], v[6:7], -v[2:3]
	v_mul_f64 v[0:1], v[16:17], s[0:1]
	v_mul_f64 v[2:3], v[2:3], s[0:1]
	global_store_dwordx4 v[14:15], v[0:3], off
	global_load_dwordx4 v[0:3], v[12:13], off offset:3344
	v_add_co_u32_e32 v4, vcc, s4, v94
	v_lshl_add_u64 v[12:13], v[14:15], 0, s[2:3]
	s_nop 0
	v_addc_co_u32_e32 v5, vcc, 0, v95, vcc
	s_movk_i32 s4, 0x6000
	v_add_co_u32_e32 v14, vcc, s4, v94
	s_waitcnt vmcnt(0) lgkmcnt(0)
	v_mul_f64 v[6:7], v[10:11], v[2:3]
	v_mul_f64 v[2:3], v[8:9], v[2:3]
	v_fmac_f64_e32 v[6:7], v[8:9], v[0:1]
	v_fma_f64 v[2:3], v[0:1], v[10:11], -v[2:3]
	v_mul_f64 v[0:1], v[6:7], s[0:1]
	v_mul_f64 v[2:3], v[2:3], s[0:1]
	global_store_dwordx4 v[12:13], v[0:3], off
	global_load_dwordx4 v[0:3], v[4:5], off offset:1840
	ds_read_b128 v[4:7], v92 offset:22320
	ds_read_b128 v[8:11], v92 offset:24912
	v_lshl_add_u64 v[12:13], v[12:13], 0, s[2:3]
	v_addc_co_u32_e32 v15, vcc, 0, v95, vcc
	s_waitcnt vmcnt(0) lgkmcnt(1)
	v_mul_f64 v[16:17], v[6:7], v[2:3]
	v_mul_f64 v[2:3], v[4:5], v[2:3]
	v_fmac_f64_e32 v[16:17], v[4:5], v[0:1]
	v_fma_f64 v[2:3], v[0:1], v[6:7], -v[2:3]
	v_mul_f64 v[0:1], v[16:17], s[0:1]
	v_mul_f64 v[2:3], v[2:3], s[0:1]
	global_store_dwordx4 v[12:13], v[0:3], off
	global_load_dwordx4 v[0:3], v[14:15], off offset:336
	v_lshl_add_u64 v[12:13], v[12:13], 0, s[2:3]
	s_waitcnt vmcnt(0) lgkmcnt(0)
	v_mul_f64 v[4:5], v[10:11], v[2:3]
	v_mul_f64 v[2:3], v[8:9], v[2:3]
	v_fmac_f64_e32 v[4:5], v[8:9], v[0:1]
	v_fma_f64 v[2:3], v[0:1], v[10:11], -v[2:3]
	v_mul_f64 v[0:1], v[4:5], s[0:1]
	v_mul_f64 v[2:3], v[2:3], s[0:1]
	global_store_dwordx4 v[12:13], v[0:3], off
	global_load_dwordx4 v[0:3], v[14:15], off offset:2928
	ds_read_b128 v[4:7], v92 offset:27504
	s_waitcnt vmcnt(0) lgkmcnt(0)
	v_mul_f64 v[8:9], v[6:7], v[2:3]
	v_mul_f64 v[2:3], v[4:5], v[2:3]
	v_fmac_f64_e32 v[8:9], v[4:5], v[0:1]
	v_fma_f64 v[2:3], v[0:1], v[6:7], -v[2:3]
	v_mul_f64 v[0:1], v[8:9], s[0:1]
	v_mul_f64 v[2:3], v[2:3], s[0:1]
	v_lshl_add_u64 v[4:5], v[12:13], 0, s[2:3]
	global_store_dwordx4 v[4:5], v[0:3], off
.LBB0_15:
	s_endpgm
	.section	.rodata,"a",@progbits
	.p2align	6, 0x0
	.amdhsa_kernel bluestein_single_back_len1782_dim1_dp_op_CI_CI
		.amdhsa_group_segment_fixed_size 28512
		.amdhsa_private_segment_fixed_size 0
		.amdhsa_kernarg_size 104
		.amdhsa_user_sgpr_count 2
		.amdhsa_user_sgpr_dispatch_ptr 0
		.amdhsa_user_sgpr_queue_ptr 0
		.amdhsa_user_sgpr_kernarg_segment_ptr 1
		.amdhsa_user_sgpr_dispatch_id 0
		.amdhsa_user_sgpr_kernarg_preload_length 0
		.amdhsa_user_sgpr_kernarg_preload_offset 0
		.amdhsa_user_sgpr_private_segment_size 0
		.amdhsa_uses_dynamic_stack 0
		.amdhsa_enable_private_segment 0
		.amdhsa_system_sgpr_workgroup_id_x 1
		.amdhsa_system_sgpr_workgroup_id_y 0
		.amdhsa_system_sgpr_workgroup_id_z 0
		.amdhsa_system_sgpr_workgroup_info 0
		.amdhsa_system_vgpr_workitem_id 0
		.amdhsa_next_free_vgpr 402
		.amdhsa_next_free_sgpr 42
		.amdhsa_accum_offset 256
		.amdhsa_reserve_vcc 1
		.amdhsa_float_round_mode_32 0
		.amdhsa_float_round_mode_16_64 0
		.amdhsa_float_denorm_mode_32 3
		.amdhsa_float_denorm_mode_16_64 3
		.amdhsa_dx10_clamp 1
		.amdhsa_ieee_mode 1
		.amdhsa_fp16_overflow 0
		.amdhsa_tg_split 0
		.amdhsa_exception_fp_ieee_invalid_op 0
		.amdhsa_exception_fp_denorm_src 0
		.amdhsa_exception_fp_ieee_div_zero 0
		.amdhsa_exception_fp_ieee_overflow 0
		.amdhsa_exception_fp_ieee_underflow 0
		.amdhsa_exception_fp_ieee_inexact 0
		.amdhsa_exception_int_div_zero 0
	.end_amdhsa_kernel
	.text
.Lfunc_end0:
	.size	bluestein_single_back_len1782_dim1_dp_op_CI_CI, .Lfunc_end0-bluestein_single_back_len1782_dim1_dp_op_CI_CI
                                        ; -- End function
	.section	.AMDGPU.csdata,"",@progbits
; Kernel info:
; codeLenInByte = 31780
; NumSgprs: 48
; NumVgprs: 256
; NumAgprs: 146
; TotalNumVgprs: 402
; ScratchSize: 0
; MemoryBound: 0
; FloatMode: 240
; IeeeMode: 1
; LDSByteSize: 28512 bytes/workgroup (compile time only)
; SGPRBlocks: 5
; VGPRBlocks: 50
; NumSGPRsForWavesPerEU: 48
; NumVGPRsForWavesPerEU: 402
; AccumOffset: 256
; Occupancy: 1
; WaveLimiterHint : 1
; COMPUTE_PGM_RSRC2:SCRATCH_EN: 0
; COMPUTE_PGM_RSRC2:USER_SGPR: 2
; COMPUTE_PGM_RSRC2:TRAP_HANDLER: 0
; COMPUTE_PGM_RSRC2:TGID_X_EN: 1
; COMPUTE_PGM_RSRC2:TGID_Y_EN: 0
; COMPUTE_PGM_RSRC2:TGID_Z_EN: 0
; COMPUTE_PGM_RSRC2:TIDIG_COMP_CNT: 0
; COMPUTE_PGM_RSRC3_GFX90A:ACCUM_OFFSET: 63
; COMPUTE_PGM_RSRC3_GFX90A:TG_SPLIT: 0
	.text
	.p2alignl 6, 3212836864
	.fill 256, 4, 3212836864
	.type	__hip_cuid_57e64e8d404d377c,@object ; @__hip_cuid_57e64e8d404d377c
	.section	.bss,"aw",@nobits
	.globl	__hip_cuid_57e64e8d404d377c
__hip_cuid_57e64e8d404d377c:
	.byte	0                               ; 0x0
	.size	__hip_cuid_57e64e8d404d377c, 1

	.ident	"AMD clang version 19.0.0git (https://github.com/RadeonOpenCompute/llvm-project roc-6.4.0 25133 c7fe45cf4b819c5991fe208aaa96edf142730f1d)"
	.section	".note.GNU-stack","",@progbits
	.addrsig
	.addrsig_sym __hip_cuid_57e64e8d404d377c
	.amdgpu_metadata
---
amdhsa.kernels:
  - .agpr_count:     146
    .args:
      - .actual_access:  read_only
        .address_space:  global
        .offset:         0
        .size:           8
        .value_kind:     global_buffer
      - .actual_access:  read_only
        .address_space:  global
        .offset:         8
        .size:           8
        .value_kind:     global_buffer
      - .actual_access:  read_only
        .address_space:  global
        .offset:         16
        .size:           8
        .value_kind:     global_buffer
      - .actual_access:  read_only
        .address_space:  global
        .offset:         24
        .size:           8
        .value_kind:     global_buffer
      - .actual_access:  read_only
        .address_space:  global
        .offset:         32
        .size:           8
        .value_kind:     global_buffer
      - .offset:         40
        .size:           8
        .value_kind:     by_value
      - .address_space:  global
        .offset:         48
        .size:           8
        .value_kind:     global_buffer
      - .address_space:  global
        .offset:         56
        .size:           8
        .value_kind:     global_buffer
      - .address_space:  global
        .offset:         64
        .size:           8
        .value_kind:     global_buffer
      - .address_space:  global
        .offset:         72
        .size:           8
        .value_kind:     global_buffer
      - .offset:         80
        .size:           4
        .value_kind:     by_value
      - .address_space:  global
        .offset:         88
        .size:           8
        .value_kind:     global_buffer
      - .address_space:  global
        .offset:         96
        .size:           8
        .value_kind:     global_buffer
    .group_segment_fixed_size: 28512
    .kernarg_segment_align: 8
    .kernarg_segment_size: 104
    .language:       OpenCL C
    .language_version:
      - 2
      - 0
    .max_flat_workgroup_size: 99
    .name:           bluestein_single_back_len1782_dim1_dp_op_CI_CI
    .private_segment_fixed_size: 0
    .sgpr_count:     48
    .sgpr_spill_count: 0
    .symbol:         bluestein_single_back_len1782_dim1_dp_op_CI_CI.kd
    .uniform_work_group_size: 1
    .uses_dynamic_stack: false
    .vgpr_count:     402
    .vgpr_spill_count: 0
    .wavefront_size: 64
amdhsa.target:   amdgcn-amd-amdhsa--gfx950
amdhsa.version:
  - 1
  - 2
...

	.end_amdgpu_metadata
